;; amdgpu-corpus repo=ROCm/rocFFT kind=compiled arch=gfx1100 opt=O3
	.text
	.amdgcn_target "amdgcn-amd-amdhsa--gfx1100"
	.amdhsa_code_object_version 6
	.protected	fft_rtc_fwd_len289_factors_17_17_wgs_119_tpt_17_dp_ip_CI_sbcc_twdbase8_2step_dirReg_intrinsicReadWrite ; -- Begin function fft_rtc_fwd_len289_factors_17_17_wgs_119_tpt_17_dp_ip_CI_sbcc_twdbase8_2step_dirReg_intrinsicReadWrite
	.globl	fft_rtc_fwd_len289_factors_17_17_wgs_119_tpt_17_dp_ip_CI_sbcc_twdbase8_2step_dirReg_intrinsicReadWrite
	.p2align	8
	.type	fft_rtc_fwd_len289_factors_17_17_wgs_119_tpt_17_dp_ip_CI_sbcc_twdbase8_2step_dirReg_intrinsicReadWrite,@function
fft_rtc_fwd_len289_factors_17_17_wgs_119_tpt_17_dp_ip_CI_sbcc_twdbase8_2step_dirReg_intrinsicReadWrite: ; @fft_rtc_fwd_len289_factors_17_17_wgs_119_tpt_17_dp_ip_CI_sbcc_twdbase8_2step_dirReg_intrinsicReadWrite
; %bb.0:
	s_mov_b32 s16, s15
	s_load_b128 s[12:15], s[0:1], 0x18
	v_mov_b32_e32 v2, v0
	s_mov_b64 s[20:21], 0
	s_waitcnt lgkmcnt(0)
	s_load_b64 s[2:3], s[12:13], 0x8
	s_waitcnt lgkmcnt(0)
	s_add_u32 s4, s2, -1
	s_addc_u32 s5, s3, -1
	s_add_u32 s6, 0, 0x92481000
	s_addc_u32 s7, 0, 0x64
	s_mul_hi_u32 s9, s6, -7
	s_add_i32 s7, s7, 0x249248c0
	s_sub_i32 s9, s9, s6
	s_mul_i32 s11, s7, -7
	s_mul_i32 s8, s6, -7
	s_add_i32 s9, s9, s11
	s_mul_hi_u32 s10, s6, s8
	s_mul_i32 s18, s6, s9
	s_mul_hi_u32 s11, s6, s9
	s_mul_hi_u32 s17, s7, s8
	s_mul_i32 s8, s7, s8
	s_add_u32 s10, s10, s18
	s_addc_u32 s11, 0, s11
	s_mul_hi_u32 s19, s7, s9
	s_add_u32 s8, s10, s8
	s_mul_i32 s9, s7, s9
	s_addc_u32 s8, s11, s17
	s_addc_u32 s10, s19, 0
	s_add_u32 s8, s8, s9
	s_delay_alu instid0(SALU_CYCLE_1) | instskip(SKIP_3) | instid1(VALU_DEP_1)
	v_add_co_u32 v0, s6, s6, s8
	s_addc_u32 s8, 0, s10
	s_cmp_lg_u32 s6, 0
	s_addc_u32 s6, s7, s8
	v_readfirstlane_b32 s7, v0
	s_mul_i32 s9, s4, s6
	s_mul_hi_u32 s8, s4, s6
	s_mul_hi_u32 s10, s5, s6
	s_mul_i32 s6, s5, s6
	s_mul_hi_u32 s11, s4, s7
	s_mul_hi_u32 s17, s5, s7
	s_mul_i32 s7, s5, s7
	s_add_u32 s9, s11, s9
	s_addc_u32 s8, 0, s8
	s_add_u32 s7, s9, s7
	s_addc_u32 s7, s8, s17
	s_addc_u32 s8, s10, 0
	s_add_u32 s6, s7, s6
	s_addc_u32 s7, 0, s8
	s_mul_i32 s9, s6, 7
	s_add_u32 s8, s6, 1
	v_sub_co_u32 v0, s4, s4, s9
	s_mul_hi_u32 s9, s6, 7
	s_addc_u32 s10, s7, 0
	s_mul_i32 s11, s7, 7
	s_delay_alu instid0(VALU_DEP_1)
	v_sub_co_u32 v1, s17, v0, 7
	s_add_u32 s18, s6, 2
	s_addc_u32 s19, s7, 0
	s_add_i32 s9, s9, s11
	s_cmp_lg_u32 s4, 0
	v_readfirstlane_b32 s4, v1
	s_subb_u32 s5, s5, s9
	s_cmp_lg_u32 s17, 0
	s_mov_b32 s17, 0
	s_subb_u32 s9, s5, 0
	s_cmp_gt_u32 s4, 6
	s_cselect_b32 s4, -1, 0
	s_cmp_eq_u32 s9, 0
	v_readfirstlane_b32 s9, v0
	s_cselect_b32 s4, s4, -1
	s_delay_alu instid0(SALU_CYCLE_1)
	s_cmp_lg_u32 s4, 0
	s_cselect_b32 s4, s18, s8
	s_cselect_b32 s8, s19, s10
	s_cmp_gt_u32 s9, 6
	s_cselect_b32 s9, -1, 0
	s_cmp_eq_u32 s5, 0
	s_cselect_b32 s5, s9, -1
	s_delay_alu instid0(SALU_CYCLE_1) | instskip(SKIP_4) | instid1(SALU_CYCLE_1)
	s_cmp_lg_u32 s5, 0
	s_cselect_b32 s4, s4, s6
	s_cselect_b32 s5, s8, s7
	s_add_u32 s18, s4, 1
	s_addc_u32 s19, s5, 0
	v_cmp_lt_u64_e64 s4, s[16:17], s[18:19]
	s_delay_alu instid0(VALU_DEP_1)
	s_and_b32 vcc_lo, exec_lo, s4
	s_cbranch_vccnz .LBB0_2
; %bb.1:
	v_cvt_f32_u32_e32 v0, s18
	s_sub_i32 s5, 0, s18
	s_mov_b32 s21, s17
	s_delay_alu instid0(VALU_DEP_1) | instskip(SKIP_2) | instid1(VALU_DEP_1)
	v_rcp_iflag_f32_e32 v0, v0
	s_waitcnt_depctr 0xfff
	v_mul_f32_e32 v0, 0x4f7ffffe, v0
	v_cvt_u32_f32_e32 v0, v0
	s_delay_alu instid0(VALU_DEP_1) | instskip(NEXT) | instid1(VALU_DEP_1)
	v_readfirstlane_b32 s4, v0
	s_mul_i32 s5, s5, s4
	s_delay_alu instid0(SALU_CYCLE_1) | instskip(NEXT) | instid1(SALU_CYCLE_1)
	s_mul_hi_u32 s5, s4, s5
	s_add_i32 s4, s4, s5
	s_delay_alu instid0(SALU_CYCLE_1) | instskip(NEXT) | instid1(SALU_CYCLE_1)
	s_mul_hi_u32 s4, s16, s4
	s_mul_i32 s5, s4, s18
	s_add_i32 s6, s4, 1
	s_sub_i32 s5, s16, s5
	s_delay_alu instid0(SALU_CYCLE_1)
	s_sub_i32 s7, s5, s18
	s_cmp_ge_u32 s5, s18
	s_cselect_b32 s4, s6, s4
	s_cselect_b32 s5, s7, s5
	s_add_i32 s6, s4, 1
	s_cmp_ge_u32 s5, s18
	s_cselect_b32 s20, s6, s4
.LBB0_2:
	s_load_b128 s[4:7], s[14:15], 0x0
	s_clause 0x2
	s_load_b128 s[8:11], s[0:1], 0x8
	s_load_b64 s[54:55], s[0:1], 0x0
	s_load_b64 s[0:1], s[0:1], 0x58
	s_waitcnt lgkmcnt(0)
	s_mul_i32 s5, s20, s19
	s_mul_hi_u32 s22, s20, s18
	s_mul_i32 s23, s20, s18
	s_add_i32 s22, s22, s5
	s_sub_u32 s34, s16, s23
	s_subb_u32 s5, 0, s22
	s_mul_hi_u32 s33, s34, 7
	s_mul_i32 s5, s5, 7
	s_mul_i32 s34, s34, 7
	s_add_i32 s33, s33, s5
	s_delay_alu instid0(SALU_CYCLE_1) | instskip(SKIP_2) | instid1(SALU_CYCLE_1)
	s_mul_i32 s5, s6, s33
	v_cmp_lt_u64_e64 s23, s[10:11], 3
	s_mul_hi_u32 s22, s6, s34
	s_add_i32 s5, s22, s5
	s_mul_i32 s22, s7, s34
	s_delay_alu instid0(SALU_CYCLE_1) | instskip(NEXT) | instid1(VALU_DEP_1)
	s_add_i32 s35, s5, s22
	s_and_b32 vcc_lo, exec_lo, s23
	s_mul_i32 s5, s6, s34
	s_cbranch_vccnz .LBB0_12
; %bb.3:
	s_add_u32 s22, s14, 16
	s_addc_u32 s23, s15, 0
	s_add_u32 s12, s12, 16
	s_addc_u32 s13, s13, 0
	s_mov_b64 s[24:25], 2
	s_mov_b32 s26, 0
.LBB0_4:                                ; =>This Inner Loop Header: Depth=1
	s_load_b64 s[28:29], s[12:13], 0x0
	s_waitcnt lgkmcnt(0)
	s_or_b64 s[30:31], s[20:21], s[28:29]
	s_delay_alu instid0(SALU_CYCLE_1) | instskip(NEXT) | instid1(SALU_CYCLE_1)
	s_mov_b32 s27, s31
                                        ; implicit-def: $sgpr30_sgpr31
	s_cmp_lg_u64 s[26:27], 0
	s_mov_b32 s27, -1
	s_cbranch_scc0 .LBB0_6
; %bb.5:                                ;   in Loop: Header=BB0_4 Depth=1
	v_cvt_f32_u32_e32 v0, s28
	v_cvt_f32_u32_e32 v1, s29
	s_sub_u32 s31, 0, s28
	s_subb_u32 s36, 0, s29
	s_delay_alu instid0(VALU_DEP_1) | instskip(NEXT) | instid1(VALU_DEP_1)
	v_fmac_f32_e32 v0, 0x4f800000, v1
	v_rcp_f32_e32 v0, v0
	s_waitcnt_depctr 0xfff
	v_mul_f32_e32 v0, 0x5f7ffffc, v0
	s_delay_alu instid0(VALU_DEP_1) | instskip(NEXT) | instid1(VALU_DEP_1)
	v_mul_f32_e32 v1, 0x2f800000, v0
	v_trunc_f32_e32 v1, v1
	s_delay_alu instid0(VALU_DEP_1) | instskip(SKIP_1) | instid1(VALU_DEP_2)
	v_fmac_f32_e32 v0, 0xcf800000, v1
	v_cvt_u32_f32_e32 v1, v1
	v_cvt_u32_f32_e32 v0, v0
	s_delay_alu instid0(VALU_DEP_2) | instskip(NEXT) | instid1(VALU_DEP_2)
	v_readfirstlane_b32 s27, v1
	v_readfirstlane_b32 s30, v0
	s_delay_alu instid0(VALU_DEP_2) | instskip(NEXT) | instid1(VALU_DEP_1)
	s_mul_i32 s37, s31, s27
	s_mul_hi_u32 s39, s31, s30
	s_mul_i32 s38, s36, s30
	s_add_i32 s37, s39, s37
	s_mul_i32 s40, s31, s30
	s_add_i32 s37, s37, s38
	s_mul_hi_u32 s39, s30, s40
	s_mul_hi_u32 s41, s27, s40
	s_mul_i32 s38, s27, s40
	s_mul_hi_u32 s40, s30, s37
	s_mul_i32 s30, s30, s37
	s_mul_hi_u32 s42, s27, s37
	s_add_u32 s30, s39, s30
	s_addc_u32 s39, 0, s40
	s_add_u32 s30, s30, s38
	s_mul_i32 s37, s27, s37
	s_addc_u32 s30, s39, s41
	s_addc_u32 s38, s42, 0
	s_add_u32 s30, s30, s37
	s_addc_u32 s37, 0, s38
	v_add_co_u32 v0, s30, v0, s30
	s_delay_alu instid0(VALU_DEP_1) | instskip(SKIP_1) | instid1(VALU_DEP_1)
	s_cmp_lg_u32 s30, 0
	s_addc_u32 s27, s27, s37
	v_readfirstlane_b32 s30, v0
	s_mul_i32 s37, s31, s27
	s_delay_alu instid0(VALU_DEP_1)
	s_mul_hi_u32 s38, s31, s30
	s_mul_i32 s36, s36, s30
	s_add_i32 s37, s38, s37
	s_mul_i32 s31, s31, s30
	s_add_i32 s37, s37, s36
	s_mul_hi_u32 s38, s27, s31
	s_mul_i32 s39, s27, s31
	s_mul_hi_u32 s31, s30, s31
	s_mul_hi_u32 s40, s30, s37
	s_mul_i32 s30, s30, s37
	s_mul_hi_u32 s36, s27, s37
	s_add_u32 s30, s31, s30
	s_addc_u32 s31, 0, s40
	s_add_u32 s30, s30, s39
	s_mul_i32 s37, s27, s37
	s_addc_u32 s30, s31, s38
	s_addc_u32 s31, s36, 0
	s_add_u32 s30, s30, s37
	s_addc_u32 s31, 0, s31
	v_add_co_u32 v0, s30, v0, s30
	s_delay_alu instid0(VALU_DEP_1) | instskip(SKIP_1) | instid1(VALU_DEP_1)
	s_cmp_lg_u32 s30, 0
	s_addc_u32 s27, s27, s31
	v_readfirstlane_b32 s30, v0
	s_mul_i32 s36, s20, s27
	s_mul_hi_u32 s31, s20, s27
	s_mul_hi_u32 s37, s21, s27
	s_mul_i32 s27, s21, s27
	s_mul_hi_u32 s38, s20, s30
	s_mul_hi_u32 s39, s21, s30
	s_mul_i32 s30, s21, s30
	s_add_u32 s36, s38, s36
	s_addc_u32 s31, 0, s31
	s_add_u32 s30, s36, s30
	s_addc_u32 s30, s31, s39
	s_addc_u32 s31, s37, 0
	s_add_u32 s30, s30, s27
	s_addc_u32 s31, 0, s31
	s_mul_hi_u32 s27, s28, s30
	s_mul_i32 s37, s28, s31
	s_mul_i32 s38, s28, s30
	s_add_i32 s27, s27, s37
	v_sub_co_u32 v0, s37, s20, s38
	s_mul_i32 s36, s29, s30
	s_delay_alu instid0(SALU_CYCLE_1) | instskip(NEXT) | instid1(VALU_DEP_1)
	s_add_i32 s27, s27, s36
	v_sub_co_u32 v1, s38, v0, s28
	s_sub_i32 s36, s21, s27
	s_cmp_lg_u32 s37, 0
	s_subb_u32 s36, s36, s29
	s_cmp_lg_u32 s38, 0
	v_readfirstlane_b32 s38, v1
	s_subb_u32 s36, s36, 0
	s_delay_alu instid0(SALU_CYCLE_1) | instskip(SKIP_1) | instid1(VALU_DEP_1)
	s_cmp_ge_u32 s36, s29
	s_cselect_b32 s39, -1, 0
	s_cmp_ge_u32 s38, s28
	s_cselect_b32 s38, -1, 0
	s_cmp_eq_u32 s36, s29
	s_cselect_b32 s36, s38, s39
	s_add_u32 s38, s30, 1
	s_addc_u32 s39, s31, 0
	s_add_u32 s40, s30, 2
	s_addc_u32 s41, s31, 0
	s_cmp_lg_u32 s36, 0
	s_cselect_b32 s36, s40, s38
	s_cselect_b32 s38, s41, s39
	s_cmp_lg_u32 s37, 0
	v_readfirstlane_b32 s37, v0
	s_subb_u32 s27, s21, s27
	s_delay_alu instid0(SALU_CYCLE_1) | instskip(SKIP_1) | instid1(VALU_DEP_1)
	s_cmp_ge_u32 s27, s29
	s_cselect_b32 s39, -1, 0
	s_cmp_ge_u32 s37, s28
	s_cselect_b32 s37, -1, 0
	s_cmp_eq_u32 s27, s29
	s_cselect_b32 s27, s37, s39
	s_delay_alu instid0(SALU_CYCLE_1)
	s_cmp_lg_u32 s27, 0
	s_mov_b32 s27, 0
	s_cselect_b32 s31, s38, s31
	s_cselect_b32 s30, s36, s30
.LBB0_6:                                ;   in Loop: Header=BB0_4 Depth=1
	s_and_not1_b32 vcc_lo, exec_lo, s27
	s_cbranch_vccnz .LBB0_8
; %bb.7:                                ;   in Loop: Header=BB0_4 Depth=1
	v_cvt_f32_u32_e32 v0, s28
	s_sub_i32 s30, 0, s28
	s_waitcnt_depctr 0xfff
	v_rcp_iflag_f32_e32 v0, v0
	s_waitcnt_depctr 0xfff
	v_mul_f32_e32 v0, 0x4f7ffffe, v0
	s_delay_alu instid0(VALU_DEP_1) | instskip(NEXT) | instid1(VALU_DEP_1)
	v_cvt_u32_f32_e32 v0, v0
	v_readfirstlane_b32 s27, v0
	s_delay_alu instid0(VALU_DEP_1) | instskip(NEXT) | instid1(SALU_CYCLE_1)
	s_mul_i32 s30, s30, s27
	s_mul_hi_u32 s30, s27, s30
	s_delay_alu instid0(SALU_CYCLE_1) | instskip(NEXT) | instid1(SALU_CYCLE_1)
	s_add_i32 s27, s27, s30
	s_mul_hi_u32 s27, s20, s27
	s_delay_alu instid0(SALU_CYCLE_1) | instskip(SKIP_2) | instid1(SALU_CYCLE_1)
	s_mul_i32 s30, s27, s28
	s_add_i32 s31, s27, 1
	s_sub_i32 s30, s20, s30
	s_sub_i32 s36, s30, s28
	s_cmp_ge_u32 s30, s28
	s_cselect_b32 s27, s31, s27
	s_cselect_b32 s30, s36, s30
	s_add_i32 s31, s27, 1
	s_cmp_ge_u32 s30, s28
	s_cselect_b32 s30, s31, s27
	s_mov_b32 s31, s26
.LBB0_8:                                ;   in Loop: Header=BB0_4 Depth=1
	s_load_b64 s[36:37], s[22:23], 0x0
	s_mul_i32 s19, s28, s19
	s_mul_hi_u32 s27, s28, s18
	s_mul_i32 s38, s29, s18
	s_mul_i32 s29, s30, s29
	s_mul_hi_u32 s39, s30, s28
	s_mul_i32 s40, s31, s28
	s_add_i32 s19, s27, s19
	s_add_i32 s27, s39, s29
	s_mul_i32 s41, s30, s28
	s_add_i32 s19, s19, s38
	s_add_i32 s27, s27, s40
	s_sub_u32 s20, s20, s41
	s_subb_u32 s21, s21, s27
	s_mul_i32 s18, s28, s18
	s_waitcnt lgkmcnt(0)
	s_mul_i32 s21, s36, s21
	s_mul_hi_u32 s27, s36, s20
	s_delay_alu instid0(SALU_CYCLE_1)
	s_add_i32 s21, s27, s21
	s_mul_i32 s27, s37, s20
	s_mul_i32 s20, s36, s20
	s_add_i32 s21, s21, s27
	s_add_u32 s5, s20, s5
	s_addc_u32 s35, s21, s35
	s_add_u32 s24, s24, 1
	s_addc_u32 s25, s25, 0
	s_add_u32 s22, s22, 8
	v_cmp_ge_u64_e64 s20, s[24:25], s[10:11]
	s_addc_u32 s23, s23, 0
	s_add_u32 s12, s12, 8
	s_addc_u32 s13, s13, 0
	s_delay_alu instid0(VALU_DEP_1)
	s_and_b32 vcc_lo, exec_lo, s20
	s_cbranch_vccnz .LBB0_10
; %bb.9:                                ;   in Loop: Header=BB0_4 Depth=1
	s_mov_b64 s[20:21], s[30:31]
	s_branch .LBB0_4
.LBB0_10:
	v_cmp_lt_u64_e64 s12, s[16:17], s[18:19]
	s_mov_b64 s[20:21], 0
	s_delay_alu instid0(VALU_DEP_1)
	s_and_b32 vcc_lo, exec_lo, s12
	s_cbranch_vccnz .LBB0_12
; %bb.11:
	v_cvt_f32_u32_e32 v0, s18
	s_sub_i32 s13, 0, s18
	s_delay_alu instid0(VALU_DEP_1) | instskip(SKIP_2) | instid1(VALU_DEP_1)
	v_rcp_iflag_f32_e32 v0, v0
	s_waitcnt_depctr 0xfff
	v_mul_f32_e32 v0, 0x4f7ffffe, v0
	v_cvt_u32_f32_e32 v0, v0
	s_delay_alu instid0(VALU_DEP_1) | instskip(NEXT) | instid1(VALU_DEP_1)
	v_readfirstlane_b32 s12, v0
	s_mul_i32 s13, s13, s12
	s_delay_alu instid0(SALU_CYCLE_1) | instskip(NEXT) | instid1(SALU_CYCLE_1)
	s_mul_hi_u32 s13, s12, s13
	s_add_i32 s12, s12, s13
	s_delay_alu instid0(SALU_CYCLE_1) | instskip(NEXT) | instid1(SALU_CYCLE_1)
	s_mul_hi_u32 s12, s16, s12
	s_mul_i32 s13, s12, s18
	s_delay_alu instid0(SALU_CYCLE_1)
	s_sub_i32 s13, s16, s13
	s_add_i32 s16, s12, 1
	s_sub_i32 s17, s13, s18
	s_cmp_ge_u32 s13, s18
	s_cselect_b32 s12, s16, s12
	s_cselect_b32 s13, s17, s13
	s_add_i32 s16, s12, 1
	s_cmp_ge_u32 s13, s18
	s_cselect_b32 s20, s16, s12
.LBB0_12:
	v_mul_u32_u24_e32 v0, 0x2493, v2
	s_lshl_b64 s[10:11], s[10:11], 3
	v_mov_b32_e32 v7, 0
	s_add_u32 s10, s14, s10
	s_addc_u32 s11, s15, s11
	v_lshrrev_b32_e32 v71, 16, v0
	s_load_b64 s[10:11], s[10:11], 0x0
	v_mov_b32_e32 v8, 0
	s_delay_alu instid0(VALU_DEP_2) | instskip(NEXT) | instid1(VALU_DEP_1)
	v_mul_lo_u16 v0, v71, 7
	v_sub_nc_u16 v0, v2, v0
	s_delay_alu instid0(VALU_DEP_1) | instskip(NEXT) | instid1(VALU_DEP_1)
	v_and_b32_e32 v0, 0xffff, v0
	v_mad_u64_u32 v[57:58], null, s6, v0, 0
	s_waitcnt lgkmcnt(0)
	s_mul_i32 s6, s10, s20
	s_delay_alu instid0(SALU_CYCLE_1) | instskip(NEXT) | instid1(VALU_DEP_1)
	s_add_u32 s5, s6, s5
	v_mov_b32_e32 v1, v58
	v_add_co_u32 v212, s10, s34, v0
	s_delay_alu instid0(VALU_DEP_1)
	v_add_co_ci_u32_e64 v213, null, s33, 0, s10
	s_add_u32 s10, s34, 7
	s_addc_u32 s11, s33, 0
	s_clause 0x1
	scratch_store_b32 off, v2, off offset:216
	scratch_store_b32 off, v0, off offset:8
	v_cmp_le_u64_e64 s6, s[10:11], s[2:3]
	v_cmp_gt_u64_e32 vcc_lo, s[2:3], v[212:213]
	v_mad_u64_u32 v[2:3], null, s7, v0, v[1:2]
	v_dual_mov_b32 v3, v7 :: v_dual_mov_b32 v4, v8
	v_dual_mov_b32 v1, v7 :: v_dual_mov_b32 v2, v8
	s_or_b32 s33, s6, vcc_lo
	s_delay_alu instid0(SALU_CYCLE_1)
	s_and_saveexec_b32 s2, s33
	s_cbranch_execz .LBB0_14
; %bb.13:
	v_mul_lo_u32 v0, s4, v71
	v_mov_b32_e32 v2, 0
	s_delay_alu instid0(VALU_DEP_2) | instskip(NEXT) | instid1(VALU_DEP_1)
	v_add3_u32 v1, s5, v57, v0
	v_lshlrev_b64 v[1:2], 4, v[1:2]
	s_delay_alu instid0(VALU_DEP_1) | instskip(NEXT) | instid1(VALU_DEP_2)
	v_add_co_u32 v1, vcc_lo, s0, v1
	v_add_co_ci_u32_e32 v2, vcc_lo, s1, v2, vcc_lo
	global_load_b128 v[1:4], v[1:2], off
.LBB0_14:
	s_or_b32 exec_lo, exec_lo, s2
	v_dual_mov_b32 v5, v7 :: v_dual_mov_b32 v6, v8
	s_and_saveexec_b32 s2, s33
	s_cbranch_execz .LBB0_16
; %bb.15:
	v_add_nc_u32_e32 v0, 17, v71
	v_mov_b32_e32 v6, 0
	s_delay_alu instid0(VALU_DEP_2) | instskip(NEXT) | instid1(VALU_DEP_1)
	v_mul_lo_u32 v0, s4, v0
	v_add3_u32 v5, s5, v57, v0
	s_delay_alu instid0(VALU_DEP_1) | instskip(NEXT) | instid1(VALU_DEP_1)
	v_lshlrev_b64 v[5:6], 4, v[5:6]
	v_add_co_u32 v5, vcc_lo, s0, v5
	s_delay_alu instid0(VALU_DEP_2)
	v_add_co_ci_u32_e32 v6, vcc_lo, s1, v6, vcc_lo
	global_load_b128 v[5:8], v[5:6], off
.LBB0_16:
	s_or_b32 exec_lo, exec_lo, s2
	v_mov_b32_e32 v15, 0
	v_mov_b32_e32 v16, 0
	s_delay_alu instid0(VALU_DEP_2) | instskip(NEXT) | instid1(VALU_DEP_2)
	v_mov_b32_e32 v11, v15
	v_dual_mov_b32 v9, v15 :: v_dual_mov_b32 v10, v16
	v_mov_b32_e32 v12, v16
	s_and_saveexec_b32 s2, s33
	s_cbranch_execz .LBB0_18
; %bb.17:
	v_add_nc_u32_e32 v0, 34, v71
	v_mov_b32_e32 v10, 0
	s_delay_alu instid0(VALU_DEP_2) | instskip(NEXT) | instid1(VALU_DEP_1)
	v_mul_lo_u32 v0, s4, v0
	v_add3_u32 v9, s5, v57, v0
	s_delay_alu instid0(VALU_DEP_1) | instskip(NEXT) | instid1(VALU_DEP_1)
	v_lshlrev_b64 v[9:10], 4, v[9:10]
	v_add_co_u32 v9, vcc_lo, s0, v9
	s_delay_alu instid0(VALU_DEP_2)
	v_add_co_ci_u32_e32 v10, vcc_lo, s1, v10, vcc_lo
	global_load_b128 v[9:12], v[9:10], off
.LBB0_18:
	s_or_b32 exec_lo, exec_lo, s2
	v_dual_mov_b32 v13, v15 :: v_dual_mov_b32 v14, v16
	s_and_saveexec_b32 s2, s33
	s_cbranch_execz .LBB0_20
; %bb.19:
	v_add_nc_u32_e32 v0, 51, v71
	v_mov_b32_e32 v14, 0
	s_delay_alu instid0(VALU_DEP_2) | instskip(NEXT) | instid1(VALU_DEP_1)
	v_mul_lo_u32 v0, s4, v0
	v_add3_u32 v13, s5, v57, v0
	s_delay_alu instid0(VALU_DEP_1) | instskip(NEXT) | instid1(VALU_DEP_1)
	v_lshlrev_b64 v[13:14], 4, v[13:14]
	v_add_co_u32 v13, vcc_lo, s0, v13
	s_delay_alu instid0(VALU_DEP_2)
	v_add_co_ci_u32_e32 v14, vcc_lo, s1, v14, vcc_lo
	global_load_b128 v[13:16], v[13:14], off
.LBB0_20:
	s_or_b32 exec_lo, exec_lo, s2
	v_mov_b32_e32 v23, 0
	v_mov_b32_e32 v24, 0
	s_delay_alu instid0(VALU_DEP_2) | instskip(NEXT) | instid1(VALU_DEP_2)
	v_mov_b32_e32 v19, v23
	v_dual_mov_b32 v17, v23 :: v_dual_mov_b32 v18, v24
	v_mov_b32_e32 v20, v24
	s_and_saveexec_b32 s2, s33
	s_cbranch_execz .LBB0_22
; %bb.21:
	v_add_nc_u32_e32 v0, 0x44, v71
	v_mov_b32_e32 v18, 0
	s_delay_alu instid0(VALU_DEP_2) | instskip(NEXT) | instid1(VALU_DEP_1)
	v_mul_lo_u32 v0, s4, v0
	v_add3_u32 v17, s5, v57, v0
	s_delay_alu instid0(VALU_DEP_1) | instskip(NEXT) | instid1(VALU_DEP_1)
	v_lshlrev_b64 v[17:18], 4, v[17:18]
	v_add_co_u32 v17, vcc_lo, s0, v17
	s_delay_alu instid0(VALU_DEP_2)
	v_add_co_ci_u32_e32 v18, vcc_lo, s1, v18, vcc_lo
	global_load_b128 v[17:20], v[17:18], off
.LBB0_22:
	;; [unrolled: 39-line block ×3, first 2 shown]
	s_or_b32 exec_lo, exec_lo, s2
	v_dual_mov_b32 v29, v31 :: v_dual_mov_b32 v30, v32
	s_and_saveexec_b32 s2, s33
	s_cbranch_execz .LBB0_28
; %bb.27:
	v_add_nc_u32_e32 v0, 0x77, v71
	v_mov_b32_e32 v30, 0
	s_delay_alu instid0(VALU_DEP_2) | instskip(NEXT) | instid1(VALU_DEP_1)
	v_mul_lo_u32 v0, s4, v0
	v_add3_u32 v29, s5, v57, v0
	s_delay_alu instid0(VALU_DEP_1) | instskip(NEXT) | instid1(VALU_DEP_1)
	v_lshlrev_b64 v[29:30], 4, v[29:30]
	v_add_co_u32 v29, vcc_lo, s0, v29
	s_delay_alu instid0(VALU_DEP_2)
	v_add_co_ci_u32_e32 v30, vcc_lo, s1, v30, vcc_lo
	global_load_b128 v[29:32], v[29:30], off
.LBB0_28:
	s_or_b32 exec_lo, exec_lo, s2
	v_mov_b32_e32 v35, 0
	v_mov_b32_e32 v36, 0
	s_delay_alu instid0(VALU_DEP_1)
	v_dual_mov_b32 v40, v36 :: v_dual_mov_b32 v39, v35
	v_dual_mov_b32 v38, v36 :: v_dual_mov_b32 v37, v35
	s_and_saveexec_b32 s2, s33
	s_cbranch_execz .LBB0_30
; %bb.29:
	v_add_nc_u32_e32 v0, 0x88, v71
	v_mov_b32_e32 v34, 0
	s_delay_alu instid0(VALU_DEP_2) | instskip(NEXT) | instid1(VALU_DEP_1)
	v_mul_lo_u32 v0, s4, v0
	v_add3_u32 v33, s5, v57, v0
	s_delay_alu instid0(VALU_DEP_1) | instskip(NEXT) | instid1(VALU_DEP_1)
	v_lshlrev_b64 v[33:34], 4, v[33:34]
	v_add_co_u32 v33, vcc_lo, s0, v33
	s_delay_alu instid0(VALU_DEP_2)
	v_add_co_ci_u32_e32 v34, vcc_lo, s1, v34, vcc_lo
	global_load_b128 v[37:40], v[33:34], off
.LBB0_30:
	s_or_b32 exec_lo, exec_lo, s2
	v_dual_mov_b32 v33, v35 :: v_dual_mov_b32 v34, v36
	s_and_saveexec_b32 s2, s33
	s_cbranch_execz .LBB0_32
; %bb.31:
	v_add_nc_u32_e32 v0, 0x99, v71
	v_mov_b32_e32 v34, 0
	s_delay_alu instid0(VALU_DEP_2) | instskip(NEXT) | instid1(VALU_DEP_1)
	v_mul_lo_u32 v0, s4, v0
	v_add3_u32 v33, s5, v57, v0
	s_delay_alu instid0(VALU_DEP_1) | instskip(NEXT) | instid1(VALU_DEP_1)
	v_lshlrev_b64 v[33:34], 4, v[33:34]
	v_add_co_u32 v33, vcc_lo, s0, v33
	s_delay_alu instid0(VALU_DEP_2)
	v_add_co_ci_u32_e32 v34, vcc_lo, s1, v34, vcc_lo
	global_load_b128 v[33:36], v[33:34], off
.LBB0_32:
	s_or_b32 exec_lo, exec_lo, s2
	v_mov_b32_e32 v43, 0
	v_mov_b32_e32 v44, 0
	s_delay_alu instid0(VALU_DEP_1)
	v_dual_mov_b32 v48, v44 :: v_dual_mov_b32 v47, v43
	v_dual_mov_b32 v46, v44 :: v_dual_mov_b32 v45, v43
	s_and_saveexec_b32 s2, s33
	s_cbranch_execz .LBB0_34
; %bb.33:
	v_add_nc_u32_e32 v0, 0xaa, v71
	v_mov_b32_e32 v42, 0
	s_delay_alu instid0(VALU_DEP_2) | instskip(NEXT) | instid1(VALU_DEP_1)
	v_mul_lo_u32 v0, s4, v0
	v_add3_u32 v41, s5, v57, v0
	s_delay_alu instid0(VALU_DEP_1) | instskip(NEXT) | instid1(VALU_DEP_1)
	v_lshlrev_b64 v[41:42], 4, v[41:42]
	v_add_co_u32 v41, vcc_lo, s0, v41
	s_delay_alu instid0(VALU_DEP_2)
	v_add_co_ci_u32_e32 v42, vcc_lo, s1, v42, vcc_lo
	global_load_b128 v[45:48], v[41:42], off
.LBB0_34:
	;; [unrolled: 38-line block ×3, first 2 shown]
	s_or_b32 exec_lo, exec_lo, s2
	v_dual_mov_b32 v49, v51 :: v_dual_mov_b32 v50, v52
	s_and_saveexec_b32 s2, s33
	s_cbranch_execz .LBB0_40
; %bb.39:
	v_add_nc_u32_e32 v0, 0xdd, v71
	v_mov_b32_e32 v50, 0
	s_delay_alu instid0(VALU_DEP_2) | instskip(NEXT) | instid1(VALU_DEP_1)
	v_mul_lo_u32 v0, s4, v0
	v_add3_u32 v49, s5, v57, v0
	s_delay_alu instid0(VALU_DEP_1) | instskip(NEXT) | instid1(VALU_DEP_1)
	v_lshlrev_b64 v[49:50], 4, v[49:50]
	v_add_co_u32 v49, vcc_lo, s0, v49
	s_delay_alu instid0(VALU_DEP_2)
	v_add_co_ci_u32_e32 v50, vcc_lo, s1, v50, vcc_lo
	global_load_b128 v[49:52], v[49:50], off
.LBB0_40:
	s_or_b32 exec_lo, exec_lo, s2
	v_mov_b32_e32 v59, 0
	v_mov_b32_e32 v60, 0
	scratch_store_b64 off, v[57:58], off    ; 8-byte Folded Spill
	v_dual_mov_b32 v64, v60 :: v_dual_mov_b32 v63, v59
	v_dual_mov_b32 v62, v60 :: v_dual_mov_b32 v61, v59
	s_and_saveexec_b32 s2, s33
	s_cbranch_execz .LBB0_42
; %bb.41:
	scratch_load_b64 v[61:62], off, off     ; 8-byte Folded Reload
	v_add_nc_u32_e32 v0, 0xee, v71
	v_mov_b32_e32 v58, 0
	s_delay_alu instid0(VALU_DEP_2) | instskip(SKIP_1) | instid1(VALU_DEP_1)
	v_mul_lo_u32 v0, s4, v0
	s_waitcnt vmcnt(0)
	v_add3_u32 v57, s5, v61, v0
	s_delay_alu instid0(VALU_DEP_1) | instskip(NEXT) | instid1(VALU_DEP_1)
	v_lshlrev_b64 v[57:58], 4, v[57:58]
	v_add_co_u32 v57, vcc_lo, s0, v57
	s_delay_alu instid0(VALU_DEP_2)
	v_add_co_ci_u32_e32 v58, vcc_lo, s1, v58, vcc_lo
	global_load_b128 v[61:64], v[57:58], off
.LBB0_42:
	s_or_b32 exec_lo, exec_lo, s2
	v_dual_mov_b32 v57, v59 :: v_dual_mov_b32 v58, v60
	s_and_saveexec_b32 s2, s33
	s_cbranch_execz .LBB0_44
; %bb.43:
	scratch_load_b64 v[59:60], off, off     ; 8-byte Folded Reload
	v_add_nc_u32_e32 v0, 0xff, v71
	v_mov_b32_e32 v58, 0
	s_delay_alu instid0(VALU_DEP_2) | instskip(SKIP_1) | instid1(VALU_DEP_1)
	v_mul_lo_u32 v0, s4, v0
	s_waitcnt vmcnt(0)
	v_add3_u32 v57, s5, v59, v0
	s_delay_alu instid0(VALU_DEP_1) | instskip(NEXT) | instid1(VALU_DEP_1)
	v_lshlrev_b64 v[57:58], 4, v[57:58]
	v_add_co_u32 v57, vcc_lo, s0, v57
	s_delay_alu instid0(VALU_DEP_2)
	v_add_co_ci_u32_e32 v58, vcc_lo, s1, v58, vcc_lo
	global_load_b128 v[57:60], v[57:58], off
.LBB0_44:
	s_or_b32 exec_lo, exec_lo, s2
	v_mov_b32_e32 v67, 0
	v_mov_b32_e32 v68, 0
	s_delay_alu instid0(VALU_DEP_1)
	v_dual_mov_b32 v65, v67 :: v_dual_mov_b32 v66, v68
	s_and_saveexec_b32 s2, s33
	s_cbranch_execz .LBB0_46
; %bb.45:
	scratch_load_b64 v[67:68], off, off     ; 8-byte Folded Reload
	v_add_nc_u32_e32 v0, 0x110, v71
	v_mov_b32_e32 v66, 0
	s_delay_alu instid0(VALU_DEP_2) | instskip(SKIP_1) | instid1(VALU_DEP_1)
	v_mul_lo_u32 v0, s4, v0
	s_waitcnt vmcnt(0)
	v_add3_u32 v65, s5, v67, v0
	s_delay_alu instid0(VALU_DEP_1) | instskip(NEXT) | instid1(VALU_DEP_1)
	v_lshlrev_b64 v[65:66], 4, v[65:66]
	v_add_co_u32 v65, vcc_lo, s0, v65
	s_delay_alu instid0(VALU_DEP_2)
	v_add_co_ci_u32_e32 v66, vcc_lo, s1, v66, vcc_lo
	global_load_b128 v[65:68], v[65:66], off
.LBB0_46:
	s_or_b32 exec_lo, exec_lo, s2
	s_waitcnt vmcnt(0)
	v_add_f64 v[72:73], v[1:2], v[5:6]
	v_add_f64 v[74:75], v[3:4], v[7:8]
	;; [unrolled: 1-line block ×3, first 2 shown]
	v_add_f64 v[128:129], v[37:38], -v[33:34]
	v_add_f64 v[138:139], v[25:26], v[41:42]
	v_add_f64 v[136:137], v[25:26], -v[41:42]
	v_add_f64 v[134:135], v[29:30], v[45:46]
	;; [unrolled: 2-line block ×6, first 2 shown]
	v_add_f64 v[178:179], v[9:10], -v[57:58]
	s_mov_b32 s12, 0x370991
	s_mov_b32 s2, 0x75d4884
	;; [unrolled: 1-line block ×22, first 2 shown]
	v_add_f64 v[72:73], v[72:73], v[9:10]
	v_add_f64 v[74:75], v[74:75], v[11:12]
	s_mov_b32 s52, 0x4363dd80
	s_mov_b32 s56, 0xacd6c6b4
	;; [unrolled: 1-line block ×26, first 2 shown]
	v_mul_f64 v[112:113], v[142:143], s[18:19]
	v_mul_f64 v[114:115], v[140:141], s[52:53]
	;; [unrolled: 1-line block ×10, first 2 shown]
	v_add_f64 v[72:73], v[72:73], v[13:14]
	v_add_f64 v[74:75], v[74:75], v[15:16]
	v_mul_f64 v[160:161], v[142:143], s[2:3]
	v_mul_f64 v[162:163], v[140:141], s[6:7]
	;; [unrolled: 1-line block ×29, first 2 shown]
	v_add_f64 v[72:73], v[72:73], v[17:18]
	v_add_f64 v[74:75], v[74:75], v[19:20]
	s_delay_alu instid0(VALU_DEP_2) | instskip(NEXT) | instid1(VALU_DEP_2)
	v_add_f64 v[72:73], v[72:73], v[21:22]
	v_add_f64 v[74:75], v[74:75], v[23:24]
	s_delay_alu instid0(VALU_DEP_2) | instskip(NEXT) | instid1(VALU_DEP_2)
	v_add_f64 v[72:73], v[72:73], v[25:26]
	v_add_f64 v[74:75], v[74:75], v[27:28]
	v_add_f64 v[25:26], v[27:28], -v[43:44]
	s_delay_alu instid0(VALU_DEP_3) | instskip(NEXT) | instid1(VALU_DEP_3)
	v_add_f64 v[72:73], v[72:73], v[29:30]
	v_add_f64 v[76:77], v[74:75], v[31:32]
	v_add_f64 v[29:30], v[31:32], -v[47:48]
	s_delay_alu instid0(VALU_DEP_3) | instskip(NEXT) | instid1(VALU_DEP_3)
	v_add_f64 v[74:75], v[72:73], v[37:38]
	v_add_f64 v[76:77], v[76:77], v[39:40]
	;; [unrolled: 1-line block ×3, first 2 shown]
	v_add_f64 v[37:38], v[39:40], -v[35:36]
	s_delay_alu instid0(VALU_DEP_4) | instskip(NEXT) | instid1(VALU_DEP_4)
	v_add_f64 v[39:40], v[74:75], v[33:34]
	v_add_f64 v[35:36], v[76:77], v[35:36]
	;; [unrolled: 1-line block ×7, first 2 shown]
	v_add_f64 v[45:46], v[15:16], -v[63:64]
	v_add_f64 v[47:48], v[11:12], v[59:60]
	s_delay_alu instid0(VALU_DEP_4) | instskip(NEXT) | instid1(VALU_DEP_4)
	v_add_f64 v[39:40], v[39:40], v[41:42]
	v_add_f64 v[41:42], v[35:36], v[43:44]
	v_add_f64 v[35:36], v[23:24], -v[55:56]
	v_add_f64 v[43:44], v[15:16], v[63:64]
	s_delay_alu instid0(VALU_DEP_4) | instskip(NEXT) | instid1(VALU_DEP_4)
	v_add_f64 v[21:22], v[39:40], v[53:54]
	v_add_f64 v[23:24], v[41:42], v[55:56]
	;; [unrolled: 1-line block ×3, first 2 shown]
	v_add_f64 v[41:42], v[19:20], -v[51:52]
	s_delay_alu instid0(VALU_DEP_4) | instskip(NEXT) | instid1(VALU_DEP_4)
	v_add_f64 v[17:18], v[21:22], v[49:50]
	v_add_f64 v[19:20], v[23:24], v[51:52]
	v_add_f64 v[49:50], v[11:12], -v[59:60]
	s_delay_alu instid0(VALU_DEP_3) | instskip(NEXT) | instid1(VALU_DEP_3)
	v_add_f64 v[13:14], v[17:18], v[61:62]
	v_add_f64 v[15:16], v[19:20], v[63:64]
	v_add_f64 v[17:18], v[5:6], -v[65:66]
	v_add_f64 v[19:20], v[7:8], -v[67:68]
	s_delay_alu instid0(VALU_DEP_4) | instskip(NEXT) | instid1(VALU_DEP_4)
	v_add_f64 v[9:10], v[13:14], v[57:58]
	v_add_f64 v[11:12], v[15:16], v[59:60]
	;; [unrolled: 1-line block ×4, first 2 shown]
	v_mul_f64 v[84:85], v[17:18], s[50:51]
	v_mul_f64 v[86:87], v[17:18], s[42:43]
	;; [unrolled: 1-line block ×3, first 2 shown]
	v_add_f64 v[184:185], v[9:10], v[65:66]
	v_add_f64 v[186:187], v[11:12], v[67:68]
	v_mul_f64 v[9:10], v[13:14], s[12:13]
	v_mul_f64 v[11:12], v[13:14], s[2:3]
	;; [unrolled: 1-line block ×8, first 2 shown]
	v_fma_f64 v[104:105], v[15:16], s[22:23], v[84:85]
	v_fma_f64 v[84:85], v[15:16], s[22:23], -v[84:85]
	v_fma_f64 v[106:107], v[15:16], s[10:11], v[86:87]
	v_fma_f64 v[86:87], v[15:16], s[10:11], -v[86:87]
	v_fma_f64 v[108:109], v[15:16], s[18:19], v[88:89]
	v_fma_f64 v[88:89], v[15:16], s[18:19], -v[88:89]
	v_fma_f64 v[57:58], v[19:20], s[14:15], v[9:10]
	v_fma_f64 v[9:10], v[19:20], s[40:41], v[9:10]
	v_fma_f64 v[59:60], v[19:20], s[6:7], v[11:12]
	v_fma_f64 v[11:12], v[19:20], s[48:49], v[11:12]
	v_fma_f64 v[61:62], v[19:20], s[46:47], v[21:22]
	v_fma_f64 v[21:22], v[19:20], s[20:21], v[21:22]
	v_fma_f64 v[63:64], v[19:20], s[44:45], v[23:24]
	v_fma_f64 v[23:24], v[19:20], s[36:37], v[23:24]
	v_fma_f64 v[65:66], v[19:20], s[34:35], v[51:52]
	v_fma_f64 v[67:68], v[19:20], s[50:51], v[51:52]
	v_fma_f64 v[74:75], v[19:20], s[24:25], v[53:54]
	v_fma_f64 v[76:77], v[19:20], s[42:43], v[53:54]
	v_fma_f64 v[78:79], v[19:20], s[52:53], v[55:56]
	v_fma_f64 v[80:81], v[19:20], s[30:31], v[55:56]
	v_fma_f64 v[82:83], v[19:20], s[56:57], v[13:14]
	v_fma_f64 v[13:14], v[19:20], s[38:39], v[13:14]
	v_mul_f64 v[19:20], v[17:18], s[40:41]
	v_mul_f64 v[51:52], v[17:18], s[48:49]
	;; [unrolled: 1-line block ×5, first 2 shown]
	v_add_f64 v[192:193], v[3:4], v[104:105]
	v_add_f64 v[196:197], v[3:4], v[106:107]
	;; [unrolled: 1-line block ×5, first 2 shown]
	v_mul_f64 v[88:89], v[130:131], s[28:29]
	v_mul_f64 v[104:105], v[174:175], s[10:11]
	;; [unrolled: 1-line block ×4, first 2 shown]
	v_add_f64 v[5:6], v[1:2], v[9:10]
	v_add_f64 v[9:10], v[1:2], v[59:60]
	v_mul_f64 v[59:60], v[128:129], s[42:43]
	v_add_f64 v[146:147], v[1:2], v[61:62]
	v_mul_f64 v[61:62], v[130:131], s[10:11]
	v_add_f64 v[194:195], v[1:2], v[74:75]
	v_add_f64 v[198:199], v[1:2], v[76:77]
	;; [unrolled: 1-line block ×5, first 2 shown]
	v_fma_f64 v[90:91], v[15:16], s[12:13], v[19:20]
	v_fma_f64 v[19:20], v[15:16], s[12:13], -v[19:20]
	v_fma_f64 v[94:95], v[15:16], s[2:3], -v[51:52]
	;; [unrolled: 1-line block ×4, first 2 shown]
	v_fma_f64 v[92:93], v[15:16], s[2:3], v[51:52]
	v_fma_f64 v[96:97], v[15:16], s[16:17], v[53:54]
	;; [unrolled: 1-line block ×4, first 2 shown]
	v_fma_f64 v[15:16], v[15:16], s[28:29], -v[17:18]
	v_add_f64 v[17:18], v[1:2], v[57:58]
	v_mul_f64 v[51:52], v[140:141], s[38:39]
	v_mul_f64 v[53:54], v[138:139], s[26:27]
	;; [unrolled: 1-line block ×4, first 2 shown]
	scratch_store_b64 off, v[5:6], off offset:24 ; 8-byte Folded Spill
	v_add_f64 v[90:91], v[3:4], v[90:91]
	v_add_f64 v[5:6], v[3:4], v[19:20]
	;; [unrolled: 1-line block ×7, first 2 shown]
	v_mul_f64 v[100:101], v[180:181], s[26:27]
	v_fma_f64 v[13:14], v[45:46], s[24:25], v[104:105]
	v_mul_f64 v[110:111], v[148:149], s[38:39]
	scratch_store_b64 off, v[5:6], off offset:40 ; 8-byte Folded Spill
	v_add_f64 v[5:6], v[1:2], v[11:12]
	scratch_store_b64 off, v[5:6], off offset:56 ; 8-byte Folded Spill
	v_add_f64 v[5:6], v[3:4], v[94:95]
	v_add_f64 v[94:95], v[3:4], v[15:16]
	scratch_store_b64 off, v[5:6], off offset:48 ; 8-byte Folded Spill
	v_add_f64 v[5:6], v[1:2], v[21:22]
	v_add_f64 v[21:22], v[1:2], v[63:64]
	v_mul_f64 v[63:64], v[132:133], s[40:41]
	scratch_store_b64 off, v[5:6], off offset:184 ; 8-byte Folded Spill
	v_add_f64 v[5:6], v[3:4], v[98:99]
	v_add_f64 v[98:99], v[1:2], v[67:68]
	v_mul_f64 v[67:68], v[172:173], s[56:57]
	;; [unrolled: 4-line block ×3, first 2 shown]
	v_mul_f64 v[65:66], v[152:153], s[22:23]
	scratch_store_b64 off, v[5:6], off offset:200 ; 8-byte Folded Spill
	v_add_f64 v[5:6], v[3:4], v[102:103]
	v_mul_f64 v[102:103], v[178:179], s[36:37]
	scratch_store_b64 off, v[5:6], off offset:192 ; 8-byte Folded Spill
	v_add_f64 v[5:6], v[3:4], v[84:85]
	v_mul_f64 v[3:4], v[178:179], s[48:49]
	scratch_store_b64 off, v[0:1], off offset:72 ; 8-byte Folded Spill
	v_fma_f64 v[1:2], v[49:50], s[6:7], v[0:1]
	scratch_store_b64 off, v[5:6], off offset:208 ; 8-byte Folded Spill
	v_mul_f64 v[5:6], v[174:175], s[16:17]
	scratch_store_b64 off, v[3:4], off offset:88 ; 8-byte Folded Spill
	v_add_f64 v[1:2], v[1:2], v[17:18]
	v_fma_f64 v[3:4], v[47:48], s[2:3], v[3:4]
	scratch_store_b64 off, v[5:6], off offset:96 ; 8-byte Folded Spill
	v_fma_f64 v[11:12], v[45:46], s[46:47], v[5:6]
	v_mul_f64 v[5:6], v[172:173], s[20:21]
	v_add_f64 v[3:4], v[3:4], v[90:91]
	v_mul_f64 v[90:91], v[128:129], s[38:39]
	s_delay_alu instid0(VALU_DEP_4) | instskip(SKIP_3) | instid1(VALU_DEP_2)
	v_add_f64 v[1:2], v[11:12], v[1:2]
	scratch_store_b64 off, v[5:6], off offset:104 ; 8-byte Folded Spill
	v_fma_f64 v[11:12], v[43:44], s[16:17], v[5:6]
	v_mul_f64 v[5:6], v[152:153], s[26:27]
	v_add_f64 v[3:4], v[11:12], v[3:4]
	scratch_store_b64 off, v[5:6], off offset:112 ; 8-byte Folded Spill
	v_fma_f64 v[11:12], v[41:42], s[44:45], v[5:6]
	v_mul_f64 v[5:6], v[148:149], s[36:37]
	s_delay_alu instid0(VALU_DEP_2) | instskip(SKIP_3) | instid1(VALU_DEP_2)
	v_add_f64 v[1:2], v[11:12], v[1:2]
	scratch_store_b64 off, v[5:6], off offset:120 ; 8-byte Folded Spill
	v_fma_f64 v[11:12], v[39:40], s[26:27], v[5:6]
	v_mul_f64 v[5:6], v[142:143], s[22:23]
	v_add_f64 v[3:4], v[11:12], v[3:4]
	scratch_store_b64 off, v[5:6], off offset:128 ; 8-byte Folded Spill
	v_fma_f64 v[11:12], v[35:36], s[34:35], v[5:6]
	v_mul_f64 v[5:6], v[140:141], s[50:51]
	s_delay_alu instid0(VALU_DEP_2) | instskip(SKIP_3) | instid1(VALU_DEP_2)
	v_add_f64 v[1:2], v[11:12], v[1:2]
	scratch_store_b64 off, v[5:6], off offset:136 ; 8-byte Folded Spill
	v_fma_f64 v[11:12], v[27:28], s[22:23], v[5:6]
	v_mul_f64 v[5:6], v[138:139], s[10:11]
	v_add_f64 v[3:4], v[11:12], v[3:4]
	scratch_store_b64 off, v[5:6], off offset:144 ; 8-byte Folded Spill
	v_fma_f64 v[11:12], v[25:26], s[24:25], v[5:6]
	v_mul_f64 v[5:6], v[136:137], s[42:43]
	s_delay_alu instid0(VALU_DEP_2) | instskip(SKIP_3) | instid1(VALU_DEP_2)
	v_add_f64 v[1:2], v[11:12], v[1:2]
	scratch_store_b64 off, v[5:6], off offset:152 ; 8-byte Folded Spill
	v_fma_f64 v[11:12], v[31:32], s[10:11], v[5:6]
	v_mul_f64 v[5:6], v[134:135], s[18:19]
	v_add_f64 v[3:4], v[11:12], v[3:4]
	scratch_store_b64 off, v[5:6], off offset:160 ; 8-byte Folded Spill
	v_fma_f64 v[11:12], v[29:30], s[52:53], v[5:6]
	v_mul_f64 v[5:6], v[132:133], s[30:31]
	s_delay_alu instid0(VALU_DEP_2) | instskip(NEXT) | instid1(VALU_DEP_2)
	v_add_f64 v[1:2], v[11:12], v[1:2]
	v_fma_f64 v[11:12], v[33:34], s[18:19], v[5:6]
	scratch_store_b64 off, v[5:6], off offset:168 ; 8-byte Folded Spill
	v_mul_f64 v[6:7], v[138:139], s[2:3]
	v_add_f64 v[3:4], v[11:12], v[3:4]
	v_fma_f64 v[11:12], v[37:38], s[56:57], v[88:89]
	s_delay_alu instid0(VALU_DEP_1) | instskip(SKIP_2) | instid1(VALU_DEP_2)
	v_add_f64 v[78:79], v[11:12], v[1:2]
	v_fma_f64 v[11:12], v[72:73], s[28:29], v[90:91]
	v_mul_f64 v[0:1], v[130:131], s[16:17]
	v_add_f64 v[80:81], v[11:12], v[3:4]
	v_fma_f64 v[11:12], v[49:50], s[44:45], v[100:101]
	v_fma_f64 v[2:3], v[27:28], s[28:29], v[51:52]
	v_mul_f64 v[4:5], v[136:137], s[48:49]
	s_delay_alu instid0(VALU_DEP_3) | instskip(SKIP_1) | instid1(VALU_DEP_2)
	v_add_f64 v[9:10], v[11:12], v[9:10]
	v_fma_f64 v[11:12], v[47:48], s[26:27], v[102:103]
	v_add_f64 v[9:10], v[13:14], v[9:10]
	s_delay_alu instid0(VALU_DEP_2) | instskip(SKIP_2) | instid1(VALU_DEP_2)
	v_add_f64 v[11:12], v[11:12], v[19:20]
	v_fma_f64 v[13:14], v[43:44], s[10:11], v[106:107]
	v_fma_f64 v[19:20], v[47:48], s[28:29], v[220:221]
	v_add_f64 v[11:12], v[13:14], v[11:12]
	v_fma_f64 v[13:14], v[41:42], s[56:57], v[108:109]
	s_delay_alu instid0(VALU_DEP_3) | instskip(SKIP_1) | instid1(VALU_DEP_3)
	v_add_f64 v[19:20], v[19:20], v[190:191]
	v_fma_f64 v[190:191], v[45:46], s[48:49], v[250:251]
	v_add_f64 v[9:10], v[13:14], v[9:10]
	v_fma_f64 v[13:14], v[39:40], s[28:29], v[110:111]
	s_delay_alu instid0(VALU_DEP_1) | instskip(SKIP_1) | instid1(VALU_DEP_1)
	v_add_f64 v[11:12], v[13:14], v[11:12]
	v_fma_f64 v[13:14], v[35:36], s[30:31], v[112:113]
	v_add_f64 v[9:10], v[13:14], v[9:10]
	v_fma_f64 v[13:14], v[27:28], s[18:19], v[114:115]
	s_delay_alu instid0(VALU_DEP_1) | instskip(SKIP_1) | instid1(VALU_DEP_1)
	;; [unrolled: 5-line block ×4, first 2 shown]
	v_add_f64 v[11:12], v[13:14], v[11:12]
	v_fma_f64 v[13:14], v[37:38], s[40:41], v[124:125]
	v_add_f64 v[154:155], v[13:14], v[9:10]
	v_fma_f64 v[13:14], v[72:73], s[12:13], v[126:127]
	v_mul_f64 v[8:9], v[140:141], s[44:45]
	s_delay_alu instid0(VALU_DEP_2) | instskip(SKIP_2) | instid1(VALU_DEP_2)
	v_add_f64 v[156:157], v[13:14], v[11:12]
	v_fma_f64 v[13:14], v[49:50], s[24:25], v[144:145]
	v_mul_f64 v[10:11], v[142:143], s[26:27]
	v_add_f64 v[13:14], v[13:14], v[146:147]
	v_mul_f64 v[146:147], v[178:179], s[42:43]
	s_delay_alu instid0(VALU_DEP_1) | instskip(NEXT) | instid1(VALU_DEP_1)
	v_fma_f64 v[15:16], v[47:48], s[10:11], v[146:147]
	v_add_f64 v[15:16], v[15:16], v[150:151]
	v_mul_f64 v[150:151], v[174:175], s[28:29]
	s_delay_alu instid0(VALU_DEP_1) | instskip(NEXT) | instid1(VALU_DEP_1)
	v_fma_f64 v[17:18], v[45:46], s[38:39], v[150:151]
	v_add_f64 v[13:14], v[17:18], v[13:14]
	v_fma_f64 v[17:18], v[43:44], s[28:29], v[67:68]
	s_delay_alu instid0(VALU_DEP_1) | instskip(SKIP_1) | instid1(VALU_DEP_1)
	v_add_f64 v[15:16], v[17:18], v[15:16]
	v_fma_f64 v[17:18], v[41:42], s[50:51], v[65:66]
	v_add_f64 v[13:14], v[17:18], v[13:14]
	v_fma_f64 v[17:18], v[39:40], s[22:23], v[158:159]
	s_delay_alu instid0(VALU_DEP_1) | instskip(SKIP_1) | instid1(VALU_DEP_1)
	v_add_f64 v[15:16], v[17:18], v[15:16]
	;; [unrolled: 5-line block ×5, first 2 shown]
	v_fma_f64 v[17:18], v[37:38], s[52:53], v[176:177]
	v_add_f64 v[74:75], v[17:18], v[13:14]
	v_fma_f64 v[17:18], v[72:73], s[18:19], v[182:183]
	v_mul_f64 v[12:13], v[148:149], s[30:31]
	s_delay_alu instid0(VALU_DEP_2) | instskip(SKIP_2) | instid1(VALU_DEP_2)
	v_add_f64 v[76:77], v[17:18], v[15:16]
	v_fma_f64 v[17:18], v[49:50], s[56:57], v[218:219]
	v_fma_f64 v[14:15], v[37:38], s[24:25], v[61:62]
	v_add_f64 v[17:18], v[17:18], v[21:22]
	v_fma_f64 v[21:22], v[45:46], s[50:51], v[222:223]
	s_delay_alu instid0(VALU_DEP_1) | instskip(SKIP_1) | instid1(VALU_DEP_1)
	v_add_f64 v[17:18], v[21:22], v[17:18]
	v_fma_f64 v[21:22], v[43:44], s[22:23], v[224:225]
	v_add_f64 v[19:20], v[21:22], v[19:20]
	v_fma_f64 v[21:22], v[41:42], s[40:41], v[226:227]
	s_delay_alu instid0(VALU_DEP_1) | instskip(SKIP_1) | instid1(VALU_DEP_1)
	v_add_f64 v[17:18], v[21:22], v[17:18]
	;; [unrolled: 5-line block ×5, first 2 shown]
	v_fma_f64 v[21:22], v[33:34], s[10:11], v[240:241]
	v_add_f64 v[19:20], v[21:22], v[19:20]
	v_fma_f64 v[21:22], v[37:38], s[48:49], v[242:243]
	s_delay_alu instid0(VALU_DEP_1) | instskip(SKIP_2) | instid1(VALU_DEP_2)
	v_add_f64 v[214:215], v[21:22], v[17:18]
	v_fma_f64 v[21:22], v[72:73], s[2:3], v[244:245]
	v_mul_f64 v[16:17], v[172:173], s[40:41]
	v_add_f64 v[216:217], v[21:22], v[19:20]
	v_fma_f64 v[21:22], v[49:50], s[30:31], v[246:247]
	s_delay_alu instid0(VALU_DEP_3) | instskip(SKIP_1) | instid1(VALU_DEP_3)
	v_fma_f64 v[18:19], v[43:44], s[12:13], v[16:17]
	v_fma_f64 v[16:17], v[43:44], s[12:13], -v[16:17]
	v_add_f64 v[21:22], v[21:22], v[23:24]
	v_fma_f64 v[23:24], v[47:48], s[18:19], v[248:249]
	s_delay_alu instid0(VALU_DEP_2) | instskip(NEXT) | instid1(VALU_DEP_2)
	v_add_f64 v[21:22], v[190:191], v[21:22]
	v_add_f64 v[23:24], v[23:24], v[192:193]
	v_fma_f64 v[190:191], v[43:44], s[2:3], v[252:253]
	s_delay_alu instid0(VALU_DEP_1) | instskip(SKIP_1) | instid1(VALU_DEP_1)
	v_add_f64 v[23:24], v[190:191], v[23:24]
	v_fma_f64 v[190:191], v[41:42], s[46:47], v[254:255]
	v_add_f64 v[21:22], v[190:191], v[21:22]
	v_fma_f64 v[190:191], v[39:40], s[16:17], v[188:189]
	s_delay_alu instid0(VALU_DEP_1) | instskip(SKIP_1) | instid1(VALU_DEP_2)
	v_add_f64 v[23:24], v[190:191], v[23:24]
	v_fma_f64 v[190:191], v[35:36], s[56:57], v[69:70]
	v_add_f64 v[2:3], v[2:3], v[23:24]
	s_delay_alu instid0(VALU_DEP_2) | instskip(SKIP_1) | instid1(VALU_DEP_1)
	v_add_f64 v[21:22], v[190:191], v[21:22]
	v_fma_f64 v[23:24], v[25:26], s[36:37], v[53:54]
	v_add_f64 v[21:22], v[23:24], v[21:22]
	v_fma_f64 v[23:24], v[31:32], s[26:27], v[55:56]
	s_delay_alu instid0(VALU_DEP_1) | instskip(SKIP_1) | instid1(VALU_DEP_1)
	v_add_f64 v[2:3], v[23:24], v[2:3]
	v_fma_f64 v[23:24], v[29:30], s[14:15], v[57:58]
	v_add_f64 v[21:22], v[23:24], v[21:22]
	v_fma_f64 v[23:24], v[33:34], s[12:13], v[63:64]
	s_delay_alu instid0(VALU_DEP_2) | instskip(SKIP_2) | instid1(VALU_DEP_4)
	v_add_f64 v[82:83], v[14:15], v[21:22]
	v_mul_f64 v[20:21], v[180:181], s[22:23]
	v_mul_f64 v[14:15], v[152:153], s[18:19]
	v_add_f64 v[2:3], v[23:24], v[2:3]
	v_fma_f64 v[23:24], v[72:73], s[10:11], v[59:60]
	s_delay_alu instid0(VALU_DEP_4) | instskip(NEXT) | instid1(VALU_DEP_2)
	v_fma_f64 v[190:191], v[49:50], s[50:51], v[20:21]
	v_add_f64 v[84:85], v[23:24], v[2:3]
	v_fma_f64 v[22:23], v[31:32], s[2:3], v[4:5]
	v_mul_f64 v[2:3], v[132:133], s[38:39]
	v_fma_f64 v[4:5], v[31:32], s[2:3], -v[4:5]
	v_add_f64 v[190:191], v[190:191], v[194:195]
	v_mul_f64 v[194:195], v[178:179], s[34:35]
	s_delay_alu instid0(VALU_DEP_1) | instskip(NEXT) | instid1(VALU_DEP_1)
	v_fma_f64 v[192:193], v[47:48], s[22:23], v[194:195]
	v_add_f64 v[192:193], v[192:193], v[196:197]
	v_mul_f64 v[196:197], v[174:175], s[12:13]
	s_delay_alu instid0(VALU_DEP_2) | instskip(NEXT) | instid1(VALU_DEP_2)
	v_add_f64 v[18:19], v[18:19], v[192:193]
	v_fma_f64 v[96:97], v[45:46], s[14:15], v[196:197]
	s_delay_alu instid0(VALU_DEP_1) | instskip(SKIP_2) | instid1(VALU_DEP_2)
	v_add_f64 v[96:97], v[96:97], v[190:191]
	v_fma_f64 v[190:191], v[41:42], s[52:53], v[14:15]
	v_fma_f64 v[14:15], v[41:42], s[30:31], v[14:15]
	v_add_f64 v[96:97], v[190:191], v[96:97]
	v_fma_f64 v[190:191], v[39:40], s[18:19], v[12:13]
	v_fma_f64 v[12:13], v[39:40], s[18:19], -v[12:13]
	s_delay_alu instid0(VALU_DEP_2) | instskip(SKIP_2) | instid1(VALU_DEP_2)
	v_add_f64 v[18:19], v[190:191], v[18:19]
	v_fma_f64 v[190:191], v[35:36], s[36:37], v[10:11]
	v_fma_f64 v[10:11], v[35:36], s[44:45], v[10:11]
	v_add_f64 v[96:97], v[190:191], v[96:97]
	v_fma_f64 v[190:191], v[27:28], s[26:27], v[8:9]
	v_fma_f64 v[8:9], v[27:28], s[26:27], -v[8:9]
	s_delay_alu instid0(VALU_DEP_2) | instskip(SKIP_2) | instid1(VALU_DEP_3)
	v_add_f64 v[18:19], v[190:191], v[18:19]
	v_fma_f64 v[190:191], v[25:26], s[6:7], v[6:7]
	v_fma_f64 v[6:7], v[25:26], s[48:49], v[6:7]
	v_add_f64 v[18:19], v[22:23], v[18:19]
	v_mul_f64 v[22:23], v[134:135], s[28:29]
	s_delay_alu instid0(VALU_DEP_4) | instskip(NEXT) | instid1(VALU_DEP_2)
	v_add_f64 v[96:97], v[190:191], v[96:97]
	v_fma_f64 v[190:191], v[29:30], s[56:57], v[22:23]
	s_delay_alu instid0(VALU_DEP_1) | instskip(SKIP_2) | instid1(VALU_DEP_2)
	v_add_f64 v[96:97], v[190:191], v[96:97]
	v_fma_f64 v[190:191], v[33:34], s[28:29], v[2:3]
	v_fma_f64 v[2:3], v[33:34], s[28:29], -v[2:3]
	v_add_f64 v[18:19], v[190:191], v[18:19]
	v_fma_f64 v[190:191], v[37:38], s[20:21], v[0:1]
	v_fma_f64 v[0:1], v[37:38], s[46:47], v[0:1]
	s_delay_alu instid0(VALU_DEP_2) | instskip(SKIP_1) | instid1(VALU_DEP_1)
	v_add_f64 v[190:191], v[190:191], v[96:97]
	v_mul_f64 v[96:97], v[128:129], s[46:47]
	v_fma_f64 v[192:193], v[72:73], s[16:17], v[96:97]
	s_delay_alu instid0(VALU_DEP_1) | instskip(SKIP_3) | instid1(VALU_DEP_3)
	v_add_f64 v[192:193], v[192:193], v[18:19]
	v_fma_f64 v[18:19], v[49:50], s[34:35], v[20:21]
	v_fma_f64 v[20:21], v[47:48], s[22:23], -v[194:195]
	v_fma_f64 v[194:195], v[45:46], s[40:41], v[196:197]
	v_add_f64 v[18:19], v[18:19], v[198:199]
	s_delay_alu instid0(VALU_DEP_3) | instskip(NEXT) | instid1(VALU_DEP_2)
	v_add_f64 v[20:21], v[20:21], v[200:201]
	v_add_f64 v[18:19], v[194:195], v[18:19]
	s_delay_alu instid0(VALU_DEP_2) | instskip(NEXT) | instid1(VALU_DEP_2)
	v_add_f64 v[16:17], v[16:17], v[20:21]
	v_add_f64 v[14:15], v[14:15], v[18:19]
	s_delay_alu instid0(VALU_DEP_2) | instskip(NEXT) | instid1(VALU_DEP_2)
	;; [unrolled: 3-line block ×3, first 2 shown]
	v_add_f64 v[8:9], v[8:9], v[12:13]
	v_add_f64 v[6:7], v[6:7], v[10:11]
	s_delay_alu instid0(VALU_DEP_2) | instskip(SKIP_1) | instid1(VALU_DEP_2)
	v_add_f64 v[4:5], v[4:5], v[8:9]
	v_fma_f64 v[8:9], v[29:30], s[38:39], v[22:23]
	v_add_f64 v[2:3], v[2:3], v[4:5]
	s_delay_alu instid0(VALU_DEP_2) | instskip(SKIP_2) | instid1(VALU_DEP_3)
	v_add_f64 v[6:7], v[8:9], v[6:7]
	v_fma_f64 v[4:5], v[72:73], s[16:17], -v[96:97]
	v_mul_f64 v[8:9], v[174:175], s[26:27]
	v_add_f64 v[194:195], v[0:1], v[6:7]
	v_mul_f64 v[0:1], v[180:181], s[16:17]
	s_delay_alu instid0(VALU_DEP_4) | instskip(SKIP_2) | instid1(VALU_DEP_4)
	v_add_f64 v[196:197], v[4:5], v[2:3]
	v_mul_f64 v[4:5], v[178:179], s[46:47]
	v_fma_f64 v[10:11], v[45:46], s[44:45], v[8:9]
	v_fma_f64 v[2:3], v[49:50], s[20:21], v[0:1]
	;; [unrolled: 1-line block ×3, first 2 shown]
	s_delay_alu instid0(VALU_DEP_4) | instskip(SKIP_1) | instid1(VALU_DEP_4)
	v_fma_f64 v[6:7], v[47:48], s[16:17], v[4:5]
	v_fma_f64 v[4:5], v[47:48], s[16:17], -v[4:5]
	v_add_f64 v[2:3], v[2:3], v[202:203]
	v_mul_f64 v[202:203], v[132:133], s[6:7]
	s_delay_alu instid0(VALU_DEP_4)
	v_add_f64 v[6:7], v[6:7], v[204:205]
	v_mul_f64 v[204:205], v[130:131], s[22:23]
	v_add_f64 v[0:1], v[0:1], v[206:207]
	v_add_f64 v[4:5], v[4:5], v[208:209]
	v_mul_f64 v[132:133], v[132:133], s[50:51]
	v_add_f64 v[2:3], v[10:11], v[2:3]
	v_mul_f64 v[10:11], v[172:173], s[36:37]
	s_delay_alu instid0(VALU_DEP_1) | instskip(NEXT) | instid1(VALU_DEP_1)
	v_fma_f64 v[12:13], v[43:44], s[26:27], v[10:11]
	v_add_f64 v[6:7], v[12:13], v[6:7]
	v_mul_f64 v[12:13], v[152:153], s[10:11]
	s_delay_alu instid0(VALU_DEP_1) | instskip(NEXT) | instid1(VALU_DEP_1)
	v_fma_f64 v[14:15], v[41:42], s[42:43], v[12:13]
	;; [unrolled: 4-line block ×8, first 2 shown]
	v_add_f64 v[2:3], v[198:199], v[2:3]
	v_fma_f64 v[198:199], v[33:34], s[2:3], v[202:203]
	s_delay_alu instid0(VALU_DEP_1) | instskip(SKIP_1) | instid1(VALU_DEP_1)
	v_add_f64 v[6:7], v[198:199], v[6:7]
	v_fma_f64 v[198:199], v[37:38], s[34:35], v[204:205]
	v_add_f64 v[198:199], v[198:199], v[2:3]
	v_mul_f64 v[2:3], v[128:129], s[50:51]
	s_delay_alu instid0(VALU_DEP_1) | instskip(SKIP_1) | instid1(VALU_DEP_2)
	v_fma_f64 v[200:201], v[72:73], s[22:23], v[2:3]
	v_fma_f64 v[2:3], v[72:73], s[22:23], -v[2:3]
	v_add_f64 v[200:201], v[200:201], v[6:7]
	v_fma_f64 v[6:7], v[45:46], s[36:37], v[8:9]
	v_mul_f64 v[8:9], v[174:175], s[18:19]
	s_delay_alu instid0(VALU_DEP_2) | instskip(SKIP_1) | instid1(VALU_DEP_3)
	v_add_f64 v[0:1], v[6:7], v[0:1]
	v_fma_f64 v[6:7], v[43:44], s[26:27], -v[10:11]
	v_fma_f64 v[10:11], v[45:46], s[52:53], v[8:9]
	s_delay_alu instid0(VALU_DEP_2) | instskip(SKIP_1) | instid1(VALU_DEP_1)
	v_add_f64 v[4:5], v[6:7], v[4:5]
	v_fma_f64 v[6:7], v[41:42], s[24:25], v[12:13]
	v_add_f64 v[0:1], v[6:7], v[0:1]
	v_fma_f64 v[6:7], v[39:40], s[10:11], -v[14:15]
	s_delay_alu instid0(VALU_DEP_1) | instskip(SKIP_1) | instid1(VALU_DEP_1)
	v_add_f64 v[4:5], v[6:7], v[4:5]
	v_fma_f64 v[6:7], v[35:36], s[40:41], v[16:17]
	v_add_f64 v[0:1], v[6:7], v[0:1]
	v_fma_f64 v[6:7], v[27:28], s[12:13], -v[18:19]
	s_delay_alu instid0(VALU_DEP_1) | instskip(SKIP_1) | instid1(VALU_DEP_1)
	;; [unrolled: 5-line block ×3, first 2 shown]
	v_add_f64 v[4:5], v[6:7], v[4:5]
	v_fma_f64 v[6:7], v[29:30], s[6:7], v[96:97]
	v_add_f64 v[0:1], v[6:7], v[0:1]
	v_fma_f64 v[6:7], v[33:34], s[2:3], -v[202:203]
	s_delay_alu instid0(VALU_DEP_1) | instskip(SKIP_1) | instid1(VALU_DEP_2)
	v_add_f64 v[4:5], v[6:7], v[4:5]
	v_fma_f64 v[6:7], v[37:38], s[50:51], v[204:205]
	v_add_f64 v[204:205], v[2:3], v[4:5]
	s_delay_alu instid0(VALU_DEP_2) | instskip(SKIP_2) | instid1(VALU_DEP_2)
	v_add_f64 v[202:203], v[6:7], v[0:1]
	v_mul_f64 v[0:1], v[180:181], s[12:13]
	v_mul_f64 v[4:5], v[178:179], s[14:15]
	v_fma_f64 v[2:3], v[49:50], s[40:41], v[0:1]
	s_delay_alu instid0(VALU_DEP_2) | instskip(SKIP_1) | instid1(VALU_DEP_3)
	v_fma_f64 v[6:7], v[47:48], s[12:13], v[4:5]
	v_fma_f64 v[0:1], v[49:50], s[14:15], v[0:1]
	v_add_f64 v[2:3], v[2:3], v[210:211]
	s_delay_alu instid0(VALU_DEP_3) | instskip(NEXT) | instid1(VALU_DEP_3)
	v_add_f64 v[6:7], v[6:7], v[86:87]
	v_add_f64 v[0:1], v[0:1], v[92:93]
	s_delay_alu instid0(VALU_DEP_3) | instskip(SKIP_1) | instid1(VALU_DEP_1)
	v_add_f64 v[2:3], v[10:11], v[2:3]
	v_mul_f64 v[10:11], v[172:173], s[30:31]
	v_fma_f64 v[12:13], v[43:44], s[18:19], v[10:11]
	s_delay_alu instid0(VALU_DEP_1) | instskip(SKIP_1) | instid1(VALU_DEP_1)
	v_add_f64 v[6:7], v[12:13], v[6:7]
	v_mul_f64 v[12:13], v[152:153], s[2:3]
	v_fma_f64 v[14:15], v[41:42], s[48:49], v[12:13]
	s_delay_alu instid0(VALU_DEP_1) | instskip(SKIP_1) | instid1(VALU_DEP_1)
	;; [unrolled: 4-line block ×5, first 2 shown]
	v_add_f64 v[6:7], v[20:21], v[6:7]
	v_mul_f64 v[20:21], v[138:139], s[16:17]
	v_fma_f64 v[22:23], v[25:26], s[20:21], v[20:21]
	s_delay_alu instid0(VALU_DEP_1) | instskip(SKIP_2) | instid1(VALU_DEP_2)
	v_add_f64 v[2:3], v[22:23], v[2:3]
	v_mul_f64 v[22:23], v[136:137], s[46:47]
	v_mul_f64 v[136:137], v[128:129], s[44:45]
	v_fma_f64 v[96:97], v[31:32], s[16:17], v[22:23]
	s_delay_alu instid0(VALU_DEP_1) | instskip(SKIP_1) | instid1(VALU_DEP_1)
	v_add_f64 v[6:7], v[96:97], v[6:7]
	v_mul_f64 v[96:97], v[134:135], s[22:23]
	v_fma_f64 v[134:135], v[29:30], s[34:35], v[96:97]
	s_delay_alu instid0(VALU_DEP_1) | instskip(SKIP_1) | instid1(VALU_DEP_1)
	v_add_f64 v[2:3], v[134:135], v[2:3]
	v_fma_f64 v[134:135], v[33:34], s[22:23], v[132:133]
	v_add_f64 v[6:7], v[134:135], v[6:7]
	v_mul_f64 v[134:135], v[130:131], s[26:27]
	s_delay_alu instid0(VALU_DEP_1) | instskip(NEXT) | instid1(VALU_DEP_1)
	v_fma_f64 v[128:129], v[37:38], s[36:37], v[134:135]
	v_add_f64 v[128:129], v[128:129], v[2:3]
	v_fma_f64 v[2:3], v[72:73], s[26:27], v[136:137]
	s_delay_alu instid0(VALU_DEP_1) | instskip(SKIP_3) | instid1(VALU_DEP_3)
	v_add_f64 v[130:131], v[2:3], v[6:7]
	v_fma_f64 v[2:3], v[47:48], s[12:13], -v[4:5]
	v_fma_f64 v[4:5], v[45:46], s[30:31], v[8:9]
	v_fma_f64 v[6:7], v[72:73], s[26:27], -v[136:137]
	v_add_f64 v[2:3], v[2:3], v[94:95]
	s_delay_alu instid0(VALU_DEP_3) | instskip(SKIP_1) | instid1(VALU_DEP_1)
	v_add_f64 v[0:1], v[4:5], v[0:1]
	v_fma_f64 v[4:5], v[43:44], s[18:19], -v[10:11]
	v_add_f64 v[2:3], v[4:5], v[2:3]
	v_fma_f64 v[4:5], v[41:42], s[6:7], v[12:13]
	s_delay_alu instid0(VALU_DEP_1) | instskip(SKIP_1) | instid1(VALU_DEP_1)
	v_add_f64 v[0:1], v[4:5], v[0:1]
	v_fma_f64 v[4:5], v[39:40], s[2:3], -v[14:15]
	v_add_f64 v[2:3], v[4:5], v[2:3]
	v_fma_f64 v[4:5], v[35:36], s[42:43], v[16:17]
	s_delay_alu instid0(VALU_DEP_1) | instskip(SKIP_1) | instid1(VALU_DEP_1)
	;; [unrolled: 5-line block ×4, first 2 shown]
	v_add_f64 v[0:1], v[4:5], v[0:1]
	v_fma_f64 v[4:5], v[33:34], s[22:23], -v[132:133]
	v_add_f64 v[2:3], v[4:5], v[2:3]
	v_fma_f64 v[4:5], v[37:38], s[44:45], v[134:135]
	s_delay_alu instid0(VALU_DEP_2) | instskip(NEXT) | instid1(VALU_DEP_2)
	v_add_f64 v[134:135], v[6:7], v[2:3]
	v_add_f64 v[132:133], v[4:5], v[0:1]
	scratch_load_b64 v[4:5], off, off offset:208 ; 8-byte Folded Reload
	v_fma_f64 v[0:1], v[49:50], s[52:53], v[246:247]
	v_fma_f64 v[2:3], v[47:48], s[18:19], -v[248:249]
	v_fma_f64 v[6:7], v[72:73], s[10:11], -v[59:60]
	s_delay_alu instid0(VALU_DEP_3) | instskip(SKIP_1) | instid1(VALU_DEP_3)
	v_add_f64 v[0:1], v[0:1], v[98:99]
	s_waitcnt vmcnt(0)
	v_add_f64 v[2:3], v[2:3], v[4:5]
	v_fma_f64 v[4:5], v[45:46], s[6:7], v[250:251]
	s_delay_alu instid0(VALU_DEP_1) | instskip(SKIP_1) | instid1(VALU_DEP_1)
	v_add_f64 v[0:1], v[4:5], v[0:1]
	v_fma_f64 v[4:5], v[43:44], s[2:3], -v[252:253]
	v_add_f64 v[2:3], v[4:5], v[2:3]
	v_fma_f64 v[4:5], v[41:42], s[20:21], v[254:255]
	s_delay_alu instid0(VALU_DEP_1) | instskip(SKIP_1) | instid1(VALU_DEP_1)
	v_add_f64 v[0:1], v[4:5], v[0:1]
	v_fma_f64 v[4:5], v[39:40], s[16:17], -v[188:189]
	v_add_f64 v[2:3], v[4:5], v[2:3]
	v_fma_f64 v[4:5], v[35:36], s[38:39], v[69:70]
	s_delay_alu instid0(VALU_DEP_1) | instskip(SKIP_1) | instid1(VALU_DEP_1)
	v_add_f64 v[0:1], v[4:5], v[0:1]
	v_fma_f64 v[4:5], v[27:28], s[28:29], -v[51:52]
	v_add_f64 v[2:3], v[4:5], v[2:3]
	v_fma_f64 v[4:5], v[25:26], s[44:45], v[53:54]
	s_delay_alu instid0(VALU_DEP_1) | instskip(SKIP_1) | instid1(VALU_DEP_1)
	v_add_f64 v[0:1], v[4:5], v[0:1]
	v_fma_f64 v[4:5], v[31:32], s[26:27], -v[55:56]
	v_add_f64 v[2:3], v[4:5], v[2:3]
	v_fma_f64 v[4:5], v[29:30], s[40:41], v[57:58]
	s_delay_alu instid0(VALU_DEP_1) | instskip(SKIP_1) | instid1(VALU_DEP_1)
	v_add_f64 v[0:1], v[4:5], v[0:1]
	v_fma_f64 v[4:5], v[33:34], s[12:13], -v[63:64]
	v_add_f64 v[2:3], v[4:5], v[2:3]
	v_fma_f64 v[4:5], v[37:38], s[42:43], v[61:62]
	s_delay_alu instid0(VALU_DEP_2)
	v_add_f64 v[138:139], v[6:7], v[2:3]
	scratch_load_b64 v[2:3], off, off offset:200 ; 8-byte Folded Reload
	v_add_f64 v[136:137], v[4:5], v[0:1]
	scratch_load_b64 v[4:5], off, off offset:192 ; 8-byte Folded Reload
	v_fma_f64 v[0:1], v[49:50], s[38:39], v[218:219]
	v_fma_f64 v[6:7], v[72:73], s[2:3], -v[244:245]
	s_waitcnt vmcnt(1)
	s_delay_alu instid0(VALU_DEP_2) | instskip(SKIP_2) | instid1(VALU_DEP_1)
	v_add_f64 v[0:1], v[0:1], v[2:3]
	v_fma_f64 v[2:3], v[47:48], s[28:29], -v[220:221]
	s_waitcnt vmcnt(0)
	v_add_f64 v[2:3], v[2:3], v[4:5]
	v_fma_f64 v[4:5], v[45:46], s[34:35], v[222:223]
	s_delay_alu instid0(VALU_DEP_1) | instskip(SKIP_1) | instid1(VALU_DEP_1)
	v_add_f64 v[0:1], v[4:5], v[0:1]
	v_fma_f64 v[4:5], v[43:44], s[22:23], -v[224:225]
	v_add_f64 v[2:3], v[4:5], v[2:3]
	v_fma_f64 v[4:5], v[41:42], s[14:15], v[226:227]
	s_delay_alu instid0(VALU_DEP_1) | instskip(SKIP_1) | instid1(VALU_DEP_1)
	v_add_f64 v[0:1], v[4:5], v[0:1]
	v_fma_f64 v[4:5], v[39:40], s[12:13], -v[228:229]
	v_add_f64 v[2:3], v[4:5], v[2:3]
	v_fma_f64 v[4:5], v[35:36], s[20:21], v[230:231]
	s_delay_alu instid0(VALU_DEP_1) | instskip(SKIP_1) | instid1(VALU_DEP_1)
	v_add_f64 v[0:1], v[4:5], v[0:1]
	v_fma_f64 v[4:5], v[27:28], s[16:17], -v[232:233]
	v_add_f64 v[2:3], v[4:5], v[2:3]
	v_fma_f64 v[4:5], v[25:26], s[30:31], v[234:235]
	s_delay_alu instid0(VALU_DEP_1) | instskip(SKIP_1) | instid1(VALU_DEP_1)
	v_add_f64 v[0:1], v[4:5], v[0:1]
	v_fma_f64 v[4:5], v[31:32], s[18:19], -v[236:237]
	v_add_f64 v[2:3], v[4:5], v[2:3]
	v_fma_f64 v[4:5], v[29:30], s[24:25], v[238:239]
	s_delay_alu instid0(VALU_DEP_1) | instskip(SKIP_1) | instid1(VALU_DEP_1)
	v_add_f64 v[0:1], v[4:5], v[0:1]
	v_fma_f64 v[4:5], v[33:34], s[10:11], -v[240:241]
	v_add_f64 v[2:3], v[4:5], v[2:3]
	v_fma_f64 v[4:5], v[37:38], s[6:7], v[242:243]
	s_delay_alu instid0(VALU_DEP_2)
	v_add_f64 v[98:99], v[6:7], v[2:3]
	scratch_load_b64 v[2:3], off, off offset:184 ; 8-byte Folded Reload
	v_add_f64 v[96:97], v[4:5], v[0:1]
	scratch_load_b64 v[4:5], off, off offset:176 ; 8-byte Folded Reload
	v_fma_f64 v[0:1], v[49:50], s[42:43], v[144:145]
	v_fma_f64 v[6:7], v[72:73], s[18:19], -v[182:183]
	s_waitcnt vmcnt(1)
	s_delay_alu instid0(VALU_DEP_2) | instskip(SKIP_2) | instid1(VALU_DEP_1)
	v_add_f64 v[0:1], v[0:1], v[2:3]
	v_fma_f64 v[2:3], v[47:48], s[10:11], -v[146:147]
	;; [unrolled: 39-line block ×3, first 2 shown]
	s_waitcnt vmcnt(0)
	v_add_f64 v[2:3], v[2:3], v[4:5]
	v_fma_f64 v[4:5], v[45:46], s[42:43], v[104:105]
	s_delay_alu instid0(VALU_DEP_1) | instskip(SKIP_1) | instid1(VALU_DEP_1)
	v_add_f64 v[0:1], v[4:5], v[0:1]
	v_fma_f64 v[4:5], v[43:44], s[10:11], -v[106:107]
	v_add_f64 v[2:3], v[4:5], v[2:3]
	v_fma_f64 v[4:5], v[41:42], s[38:39], v[108:109]
	s_delay_alu instid0(VALU_DEP_1) | instskip(SKIP_1) | instid1(VALU_DEP_1)
	v_add_f64 v[0:1], v[4:5], v[0:1]
	v_fma_f64 v[4:5], v[39:40], s[28:29], -v[110:111]
	v_add_f64 v[2:3], v[4:5], v[2:3]
	v_fma_f64 v[4:5], v[35:36], s[52:53], v[112:113]
	s_delay_alu instid0(VALU_DEP_1) | instskip(SKIP_1) | instid1(VALU_DEP_1)
	v_add_f64 v[0:1], v[4:5], v[0:1]
	v_fma_f64 v[4:5], v[27:28], s[18:19], -v[114:115]
	v_add_f64 v[2:3], v[4:5], v[2:3]
	v_fma_f64 v[4:5], v[25:26], s[34:35], v[116:117]
	s_delay_alu instid0(VALU_DEP_1) | instskip(SKIP_1) | instid1(VALU_DEP_1)
	v_add_f64 v[0:1], v[4:5], v[0:1]
	v_fma_f64 v[4:5], v[31:32], s[22:23], -v[118:119]
	v_add_f64 v[2:3], v[4:5], v[2:3]
	v_fma_f64 v[4:5], v[29:30], s[46:47], v[120:121]
	s_delay_alu instid0(VALU_DEP_1) | instskip(SKIP_1) | instid1(VALU_DEP_1)
	v_add_f64 v[0:1], v[4:5], v[0:1]
	v_fma_f64 v[4:5], v[33:34], s[16:17], -v[122:123]
	v_add_f64 v[2:3], v[4:5], v[2:3]
	v_fma_f64 v[4:5], v[37:38], s[14:15], v[124:125]
	s_delay_alu instid0(VALU_DEP_2) | instskip(NEXT) | instid1(VALU_DEP_2)
	v_add_f64 v[102:103], v[6:7], v[2:3]
	v_add_f64 v[100:101], v[4:5], v[0:1]
	s_clause 0x3
	scratch_load_b64 v[0:1], off, off offset:72
	scratch_load_b64 v[6:7], off, off offset:104
	;; [unrolled: 1-line block ×4, first 2 shown]
	s_waitcnt vmcnt(3)
	v_fma_f64 v[0:1], v[49:50], s[48:49], v[0:1]
	s_waitcnt vmcnt(2)
	v_fma_f64 v[6:7], v[43:44], s[16:17], -v[6:7]
	s_waitcnt vmcnt(1)
	s_delay_alu instid0(VALU_DEP_2) | instskip(SKIP_4) | instid1(VALU_DEP_1)
	v_add_f64 v[0:1], v[0:1], v[4:5]
	scratch_load_b64 v[4:5], off, off offset:40 ; 8-byte Folded Reload
	s_waitcnt vmcnt(1)
	v_fma_f64 v[2:3], v[47:48], s[2:3], -v[2:3]
	s_waitcnt vmcnt(0)
	v_add_f64 v[2:3], v[2:3], v[4:5]
	scratch_load_b64 v[4:5], off, off offset:96 ; 8-byte Folded Reload
	v_add_f64 v[2:3], v[6:7], v[2:3]
	scratch_load_b64 v[6:7], off, off offset:120 ; 8-byte Folded Reload
	s_waitcnt vmcnt(1)
	v_fma_f64 v[4:5], v[45:46], s[20:21], v[4:5]
	s_delay_alu instid0(VALU_DEP_1) | instskip(SKIP_3) | instid1(VALU_DEP_1)
	v_add_f64 v[0:1], v[4:5], v[0:1]
	scratch_load_b64 v[4:5], off, off offset:112 ; 8-byte Folded Reload
	s_waitcnt vmcnt(1)
	v_fma_f64 v[6:7], v[39:40], s[26:27], -v[6:7]
	v_add_f64 v[2:3], v[6:7], v[2:3]
	scratch_load_b64 v[6:7], off, off offset:136 ; 8-byte Folded Reload
	s_waitcnt vmcnt(1)
	v_fma_f64 v[4:5], v[41:42], s[36:37], v[4:5]
	s_delay_alu instid0(VALU_DEP_1) | instskip(SKIP_3) | instid1(VALU_DEP_1)
	v_add_f64 v[0:1], v[4:5], v[0:1]
	scratch_load_b64 v[4:5], off, off offset:128 ; 8-byte Folded Reload
	s_waitcnt vmcnt(1)
	v_fma_f64 v[6:7], v[27:28], s[22:23], -v[6:7]
	v_add_f64 v[2:3], v[6:7], v[2:3]
	scratch_load_b64 v[6:7], off, off offset:152 ; 8-byte Folded Reload
	s_waitcnt vmcnt(1)
	v_fma_f64 v[4:5], v[35:36], s[50:51], v[4:5]
	s_delay_alu instid0(VALU_DEP_1) | instskip(SKIP_3) | instid1(VALU_DEP_1)
	v_add_f64 v[0:1], v[4:5], v[0:1]
	scratch_load_b64 v[4:5], off, off offset:144 ; 8-byte Folded Reload
	s_waitcnt vmcnt(0)
	v_fma_f64 v[4:5], v[25:26], s[42:43], v[4:5]
	v_add_f64 v[0:1], v[4:5], v[0:1]
	scratch_load_b64 v[4:5], off, off offset:160 ; 8-byte Folded Reload
	s_waitcnt vmcnt(0)
	v_fma_f64 v[4:5], v[29:30], s[30:31], v[4:5]
	s_delay_alu instid0(VALU_DEP_1) | instskip(SKIP_1) | instid1(VALU_DEP_1)
	v_add_f64 v[0:1], v[4:5], v[0:1]
	v_fma_f64 v[4:5], v[37:38], s[38:39], v[88:89]
	v_add_f64 v[26:27], v[4:5], v[0:1]
	scratch_load_b32 v0, off, off offset:8  ; 4-byte Folded Reload
	v_fma_f64 v[6:7], v[31:32], s[10:11], -v[6:7]
	s_delay_alu instid0(VALU_DEP_1) | instskip(SKIP_4) | instid1(VALU_DEP_1)
	v_add_f64 v[2:3], v[6:7], v[2:3]
	scratch_load_b64 v[6:7], off, off offset:168 ; 8-byte Folded Reload
	s_waitcnt vmcnt(1)
	v_lshlrev_b32_e32 v25, 4, v0
	v_mul_u32_u24_e32 v0, 0x770, v71
	v_add3_u32 v0, 0, v0, v25
	s_waitcnt vmcnt(0)
	v_fma_f64 v[6:7], v[33:34], s[18:19], -v[6:7]
	s_delay_alu instid0(VALU_DEP_1) | instskip(SKIP_1) | instid1(VALU_DEP_1)
	v_add_f64 v[2:3], v[6:7], v[2:3]
	v_fma_f64 v[6:7], v[72:73], s[28:29], -v[90:91]
	v_add_f64 v[28:29], v[6:7], v[2:3]
	ds_store_b128 v0, v[184:187]
	ds_store_b128 v0, v[78:81] offset:112
	ds_store_b128 v0, v[154:157] offset:224
	;; [unrolled: 1-line block ×16, first 2 shown]
	s_waitcnt lgkmcnt(0)
	s_waitcnt_vscnt null, 0x0
	s_barrier
	buffer_gl0_inv
	s_and_saveexec_b32 s58, s33
	s_cbranch_execz .LBB0_48
; %bb.47:
	v_mul_lo_u16 v0, v71, 31
	s_movk_i32 s33, 0xff0
	s_delay_alu instid0(VALU_DEP_1) | instskip(NEXT) | instid1(VALU_DEP_1)
	v_lshrrev_b16 v0, 9, v0
	v_mul_lo_u16 v0, v0, 17
	s_delay_alu instid0(VALU_DEP_1) | instskip(NEXT) | instid1(VALU_DEP_1)
	v_sub_nc_u16 v0, v71, v0
	v_and_b32_e32 v222, 0xff, v0
	v_mul_u32_u24_e32 v0, 0x70, v71
	s_delay_alu instid0(VALU_DEP_2) | instskip(NEXT) | instid1(VALU_DEP_2)
	v_lshlrev_b32_e32 v21, 8, v222
	v_add3_u32 v70, 0, v0, v25
	s_clause 0x4
	global_load_b128 v[1:4], v21, s[54:55] offset:112
	global_load_b128 v[5:8], v21, s[54:55] offset:128
	;; [unrolled: 1-line block ×5, first 2 shown]
	ds_load_b128 v[22:25], v70 offset:15232
	ds_load_b128 v[26:29], v70 offset:17136
	s_waitcnt vmcnt(4) lgkmcnt(1)
	v_mul_f64 v[30:31], v[22:23], v[3:4]
	v_mul_f64 v[3:4], v[24:25], v[3:4]
	s_waitcnt vmcnt(3) lgkmcnt(0)
	v_mul_f64 v[37:38], v[26:27], v[7:8]
	v_mul_f64 v[7:8], v[28:29], v[7:8]
	s_delay_alu instid0(VALU_DEP_4) | instskip(NEXT) | instid1(VALU_DEP_4)
	v_fma_f64 v[33:34], v[24:25], v[1:2], v[30:31]
	v_fma_f64 v[35:36], v[22:23], v[1:2], -v[3:4]
	ds_load_b128 v[1:4], v70 offset:13328
	ds_load_b128 v[22:25], v70 offset:11424
	v_fma_f64 v[43:44], v[26:27], v[5:6], -v[7:8]
	v_fma_f64 v[39:40], v[28:29], v[5:6], v[37:38]
	ds_load_b128 v[5:8], v70 offset:19040
	s_waitcnt vmcnt(2) lgkmcnt(2)
	v_mul_f64 v[26:27], v[1:2], v[15:16]
	v_mul_f64 v[15:16], v[3:4], v[15:16]
	v_add_f64 v[146:147], v[35:36], v[43:44]
	v_add_f64 v[218:219], v[33:34], -v[39:40]
	v_add_f64 v[148:149], v[35:36], -v[43:44]
	v_fma_f64 v[45:46], v[3:4], v[13:14], v[26:27]
	v_fma_f64 v[47:48], v[1:2], v[13:14], -v[15:16]
	ds_load_b128 v[1:4], v70 offset:20944
	s_waitcnt vmcnt(1) lgkmcnt(1)
	v_mul_f64 v[13:14], v[5:6], v[11:12]
	v_mul_f64 v[11:12], v[7:8], v[11:12]
	;; [unrolled: 1-line block ×4, first 2 shown]
	s_delay_alu instid0(VALU_DEP_4) | instskip(NEXT) | instid1(VALU_DEP_4)
	v_fma_f64 v[49:50], v[7:8], v[9:10], v[13:14]
	v_fma_f64 v[51:52], v[5:6], v[9:10], -v[11:12]
	s_waitcnt vmcnt(0)
	v_mul_f64 v[9:10], v[22:23], v[19:20]
	v_mul_f64 v[11:12], v[24:25], v[19:20]
	global_load_b128 v[5:8], v21, s[54:55] offset:64
	v_add_f64 v[214:215], v[45:46], v[49:50]
	v_add_f64 v[142:143], v[47:48], -v[51:52]
	v_fma_f64 v[55:56], v[24:25], v[17:18], v[9:10]
	v_fma_f64 v[57:58], v[22:23], v[17:18], -v[11:12]
	s_clause 0x1
	global_load_b128 v[9:12], v21, s[54:55] offset:160
	global_load_b128 v[13:16], v21, s[54:55] offset:176
	v_add_f64 v[216:217], v[45:46], -v[49:50]
	v_add_f64 v[144:145], v[47:48], v[51:52]
	v_mul_f64 v[162:163], v[214:215], s[18:19]
	v_mul_f64 v[186:187], v[214:215], s[10:11]
	s_delay_alu instid0(VALU_DEP_4) | instskip(SKIP_3) | instid1(VALU_DEP_1)
	v_mul_f64 v[220:221], v[216:217], s[46:47]
	v_mul_f64 v[192:193], v[216:217], s[24:25]
	s_waitcnt vmcnt(1) lgkmcnt(0)
	v_mul_f64 v[17:18], v[1:2], v[11:12]
	v_fma_f64 v[59:60], v[3:4], v[9:10], v[17:18]
	v_mul_f64 v[3:4], v[3:4], v[11:12]
	s_delay_alu instid0(VALU_DEP_2) | instskip(NEXT) | instid1(VALU_DEP_2)
	v_add_f64 v[210:211], v[55:56], v[59:60]
	v_fma_f64 v[61:62], v[1:2], v[9:10], -v[3:4]
	ds_load_b128 v[1:4], v70 offset:9520
	ds_load_b128 v[9:12], v70 offset:7616
	s_waitcnt lgkmcnt(1)
	v_mul_f64 v[17:18], v[1:2], v[7:8]
	v_mul_f64 v[160:161], v[210:211], s[10:11]
	v_add_f64 v[134:135], v[57:58], -v[61:62]
	v_add_f64 v[138:139], v[57:58], v[61:62]
	v_mul_f64 v[106:107], v[210:211], s[12:13]
	v_mul_f64 v[178:179], v[210:211], s[18:19]
	v_fma_f64 v[37:38], v[3:4], v[5:6], v[17:18]
	v_mul_f64 v[3:4], v[3:4], v[7:8]
	s_delay_alu instid0(VALU_DEP_1) | instskip(SKIP_4) | instid1(VALU_DEP_1)
	v_fma_f64 v[63:64], v[1:2], v[5:6], -v[3:4]
	ds_load_b128 v[1:4], v70 offset:22848
	ds_load_b128 v[17:20], v70 offset:24752
	s_waitcnt vmcnt(0) lgkmcnt(1)
	v_mul_f64 v[5:6], v[1:2], v[15:16]
	v_fma_f64 v[65:66], v[3:4], v[13:14], v[5:6]
	v_mul_f64 v[3:4], v[3:4], v[15:16]
	s_delay_alu instid0(VALU_DEP_1)
	v_fma_f64 v[67:68], v[1:2], v[13:14], -v[3:4]
	s_clause 0x1
	global_load_b128 v[5:8], v21, s[54:55] offset:48
	global_load_b128 v[1:4], v21, s[54:55] offset:32
	v_add_f64 v[130:131], v[63:64], -v[67:68]
	v_add_f64 v[132:133], v[63:64], v[67:68]
	s_waitcnt vmcnt(1)
	v_mul_f64 v[13:14], v[9:10], v[7:8]
	v_mul_f64 v[7:8], v[11:12], v[7:8]
	s_delay_alu instid0(VALU_DEP_2) | instskip(NEXT) | instid1(VALU_DEP_2)
	v_fma_f64 v[82:83], v[11:12], v[5:6], v[13:14]
	v_fma_f64 v[90:91], v[9:10], v[5:6], -v[7:8]
	s_clause 0x1
	global_load_b128 v[9:12], v21, s[54:55] offset:192
	global_load_b128 v[5:8], v21, s[54:55] offset:208
	s_waitcnt vmcnt(1) lgkmcnt(0)
	v_mul_f64 v[13:14], v[17:18], v[11:12]
	v_mul_f64 v[11:12], v[19:20], v[11:12]
	s_delay_alu instid0(VALU_DEP_2)
	v_fma_f64 v[72:73], v[19:20], v[9:10], v[13:14]
	global_load_b128 v[13:16], v21, s[54:55] offset:16
	v_fma_f64 v[74:75], v[17:18], v[9:10], -v[11:12]
	ds_load_b128 v[22:25], v70 offset:3808
	ds_load_b128 v[9:12], v70 offset:5712
	global_load_b128 v[17:20], v21, s[54:55]
	v_add_f64 v[202:203], v[82:83], v[72:73]
	v_add_f64 v[204:205], v[82:83], -v[72:73]
	v_add_f64 v[126:127], v[90:91], -v[74:75]
	v_add_f64 v[128:129], v[90:91], v[74:75]
	s_delay_alu instid0(VALU_DEP_4)
	v_mul_f64 v[253:254], v[202:203], s[26:27]
	v_mul_f64 v[168:169], v[202:203], s[12:13]
	;; [unrolled: 1-line block ×3, first 2 shown]
	s_waitcnt vmcnt(1) lgkmcnt(1)
	v_mul_f64 v[26:27], v[22:23], v[15:16]
	v_mul_f64 v[15:16], v[24:25], v[15:16]
	s_delay_alu instid0(VALU_DEP_2) | instskip(NEXT) | instid1(VALU_DEP_2)
	v_fma_f64 v[94:95], v[24:25], v[13:14], v[26:27]
	v_fma_f64 v[96:97], v[22:23], v[13:14], -v[15:16]
	s_clause 0x1
	global_load_b128 v[25:28], v21, s[54:55] offset:224
	global_load_b128 v[21:24], v21, s[54:55] offset:240
	ds_load_b128 v[29:32], v70 offset:28560
	ds_load_b128 v[13:16], v70 offset:26656
	s_waitcnt vmcnt(1) lgkmcnt(1)
	v_mul_f64 v[76:77], v[29:30], v[27:28]
	v_mul_f64 v[27:28], v[31:32], v[27:28]
	s_delay_alu instid0(VALU_DEP_2) | instskip(NEXT) | instid1(VALU_DEP_2)
	v_fma_f64 v[76:77], v[31:32], v[25:26], v[76:77]
	v_fma_f64 v[92:93], v[29:30], v[25:26], -v[27:28]
	ds_load_b128 v[25:28], v70 offset:1904
	ds_load_b128 v[29:32], v70
	s_waitcnt lgkmcnt(1)
	v_mul_f64 v[84:85], v[25:26], v[19:20]
	v_mul_f64 v[19:20], v[27:28], v[19:20]
	v_add_f64 v[182:183], v[94:95], v[76:77]
	v_add_f64 v[196:197], v[94:95], -v[76:77]
	v_add_f64 v[118:119], v[96:97], v[92:93]
	v_fma_f64 v[84:85], v[27:28], v[17:18], v[84:85]
	v_fma_f64 v[98:99], v[25:26], v[17:18], -v[19:20]
	ds_load_b128 v[17:20], v70 offset:30464
	v_mul_f64 v[243:244], v[182:183], s[2:3]
	v_mul_f64 v[247:248], v[196:197], s[48:49]
	;; [unrolled: 1-line block ×4, first 2 shown]
	s_waitcnt vmcnt(0) lgkmcnt(0)
	v_mul_f64 v[25:26], v[17:18], v[23:24]
	s_delay_alu instid0(VALU_DEP_1) | instskip(SKIP_1) | instid1(VALU_DEP_2)
	v_fma_f64 v[27:28], v[19:20], v[21:22], v[25:26]
	v_mul_f64 v[19:20], v[19:20], v[23:24]
	v_add_f64 v[172:173], v[84:85], v[27:28]
	s_delay_alu instid0(VALU_DEP_2)
	v_fma_f64 v[19:20], v[17:18], v[21:22], -v[19:20]
	v_mul_f64 v[17:18], v[9:10], v[3:4]
	v_mul_f64 v[3:4], v[11:12], v[3:4]
	v_add_f64 v[184:185], v[84:85], -v[27:28]
	v_mul_f64 v[241:242], v[172:173], s[12:13]
	v_add_f64 v[112:113], v[98:99], -v[19:20]
	v_fma_f64 v[100:101], v[11:12], v[1:2], v[17:18]
	v_fma_f64 v[102:103], v[9:10], v[1:2], -v[3:4]
	v_mul_f64 v[0:1], v[13:14], v[7:8]
	v_add_f64 v[114:115], v[98:99], v[19:20]
	v_mul_f64 v[245:246], v[184:185], s[40:41]
	v_mul_f64 v[136:137], v[184:185], s[36:37]
	;; [unrolled: 1-line block ×4, first 2 shown]
	v_fma_f64 v[23:24], v[15:16], v[5:6], v[0:1]
	v_mul_f64 v[0:1], v[15:16], v[7:8]
	s_delay_alu instid0(VALU_DEP_2) | instskip(NEXT) | instid1(VALU_DEP_2)
	v_add_f64 v[194:195], v[100:101], v[23:24]
	v_fma_f64 v[15:16], v[13:14], v[5:6], -v[0:1]
	v_mul_lo_u32 v0, v212, v222
	v_add_f64 v[198:199], v[100:101], -v[23:24]
	s_delay_alu instid0(VALU_DEP_2) | instskip(SKIP_1) | instid1(VALU_DEP_2)
	v_and_b32_e32 v1, 0xff, v0
	v_lshrrev_b32_e32 v0, 4, v0
	v_lshlrev_b32_e32 v1, 4, v1
	s_delay_alu instid0(VALU_DEP_2)
	v_and_or_b32 v0, v0, s33, 0x1000
	s_clause 0x1
	global_load_b128 v[1:4], v1, s[8:9]
	global_load_b128 v[5:8], v0, s[8:9]
	v_mul_f64 v[249:250], v[194:195], s[16:17]
	v_mul_f64 v[120:121], v[194:195], s[22:23]
	;; [unrolled: 1-line block ×4, first 2 shown]
	s_waitcnt vmcnt(0)
	v_mul_f64 v[9:10], v[3:4], v[7:8]
	s_delay_alu instid0(VALU_DEP_1) | instskip(SKIP_1) | instid1(VALU_DEP_1)
	v_fma_f64 v[9:10], v[1:2], v[5:6], -v[9:10]
	v_mul_f64 v[0:1], v[1:2], v[7:8]
	v_fma_f64 v[0:1], v[5:6], v[3:4], v[0:1]
	s_clause 0x1
	scratch_store_b64 off, v[9:10], off offset:40
	scratch_store_b64 off, v[0:1], off offset:48
	v_add_nc_u32_e32 v0, 0x110, v222
	s_delay_alu instid0(VALU_DEP_1) | instskip(NEXT) | instid1(VALU_DEP_1)
	v_mul_lo_u32 v0, v212, v0
	v_and_b32_e32 v1, 0xff, v0
	v_lshrrev_b32_e32 v0, 4, v0
	s_delay_alu instid0(VALU_DEP_2) | instskip(NEXT) | instid1(VALU_DEP_2)
	v_lshlrev_b32_e32 v1, 4, v1
	v_and_or_b32 v0, v0, s33, 0x1000
	s_clause 0x1
	global_load_b128 v[1:4], v1, s[8:9]
	global_load_b128 v[5:8], v0, s[8:9]
	s_waitcnt vmcnt(0)
	v_mul_f64 v[9:10], v[3:4], v[7:8]
	s_delay_alu instid0(VALU_DEP_1) | instskip(SKIP_1) | instid1(VALU_DEP_1)
	v_fma_f64 v[41:42], v[1:2], v[5:6], -v[9:10]
	v_mul_f64 v[0:1], v[1:2], v[7:8]
	v_fma_f64 v[11:12], v[3:4], v[5:6], v[0:1]
	v_add_nc_u32_e32 v0, 0xff, v222
	s_delay_alu instid0(VALU_DEP_1) | instskip(NEXT) | instid1(VALU_DEP_1)
	v_mul_lo_u32 v0, v212, v0
	v_and_b32_e32 v1, 0xff, v0
	v_lshrrev_b32_e32 v0, 4, v0
	s_delay_alu instid0(VALU_DEP_2) | instskip(NEXT) | instid1(VALU_DEP_2)
	v_lshlrev_b32_e32 v1, 4, v1
	v_and_or_b32 v0, v0, s33, 0x1000
	s_clause 0x1
	global_load_b128 v[1:4], v1, s[8:9]
	global_load_b128 v[5:8], v0, s[8:9]
	s_waitcnt vmcnt(0)
	v_mul_f64 v[13:14], v[3:4], v[7:8]
	s_delay_alu instid0(VALU_DEP_1) | instskip(SKIP_1) | instid1(VALU_DEP_1)
	v_fma_f64 v[158:159], v[1:2], v[5:6], -v[13:14]
	v_mul_f64 v[0:1], v[1:2], v[7:8]
	v_fma_f64 v[53:54], v[3:4], v[5:6], v[0:1]
	;; [unrolled: 17-line block ×6, first 2 shown]
	v_add_nc_u32_e32 v0, 0xaa, v222
	s_delay_alu instid0(VALU_DEP_1) | instskip(NEXT) | instid1(VALU_DEP_1)
	v_mul_lo_u32 v0, v212, v0
	v_and_b32_e32 v1, 0xff, v0
	v_lshrrev_b32_e32 v0, 4, v0
	s_delay_alu instid0(VALU_DEP_2) | instskip(NEXT) | instid1(VALU_DEP_2)
	v_lshlrev_b32_e32 v1, 4, v1
	v_and_or_b32 v0, v0, s33, 0x1000
	s_clause 0x1
	global_load_b128 v[1:4], v1, s[8:9]
	global_load_b128 v[5:8], v0, s[8:9]
	s_waitcnt vmcnt(0)
	v_mul_f64 v[25:26], v[3:4], v[7:8]
	s_delay_alu instid0(VALU_DEP_1) | instskip(SKIP_4) | instid1(VALU_DEP_1)
	v_fma_f64 v[9:10], v[1:2], v[5:6], -v[25:26]
	v_mul_f64 v[0:1], v[1:2], v[7:8]
	scratch_store_b64 off, v[9:10], off offset:444 ; 8-byte Folded Spill
	v_fma_f64 v[156:157], v[3:4], v[5:6], v[0:1]
	v_add_nc_u32_e32 v0, 0x99, v222
	v_mul_lo_u32 v0, v212, v0
	s_delay_alu instid0(VALU_DEP_1) | instskip(SKIP_1) | instid1(VALU_DEP_2)
	v_and_b32_e32 v1, 0xff, v0
	v_lshrrev_b32_e32 v0, 4, v0
	v_lshlrev_b32_e32 v1, 4, v1
	s_delay_alu instid0(VALU_DEP_2)
	v_and_or_b32 v0, v0, s33, 0x1000
	s_clause 0x1
	global_load_b128 v[1:4], v1, s[8:9]
	global_load_b128 v[5:8], v0, s[8:9]
	s_waitcnt vmcnt(0)
	v_mul_f64 v[69:70], v[3:4], v[7:8]
	s_delay_alu instid0(VALU_DEP_1) | instskip(SKIP_1) | instid1(VALU_DEP_1)
	v_fma_f64 v[9:10], v[1:2], v[5:6], -v[69:70]
	v_mul_f64 v[0:1], v[1:2], v[7:8]
	v_fma_f64 v[0:1], v[3:4], v[5:6], v[0:1]
	s_clause 0x1
	scratch_store_b64 off, v[9:10], off offset:372
	scratch_store_b64 off, v[0:1], off offset:388
	v_add_nc_u32_e32 v0, 0x88, v222
	s_delay_alu instid0(VALU_DEP_1) | instskip(NEXT) | instid1(VALU_DEP_1)
	v_mul_lo_u32 v0, v212, v0
	v_and_b32_e32 v1, 0xff, v0
	v_lshrrev_b32_e32 v0, 4, v0
	s_delay_alu instid0(VALU_DEP_2) | instskip(NEXT) | instid1(VALU_DEP_2)
	v_lshlrev_b32_e32 v1, 4, v1
	v_and_or_b32 v0, v0, s33, 0x1000
	s_clause 0x1
	global_load_b128 v[1:4], v1, s[8:9]
	global_load_b128 v[5:8], v0, s[8:9]
	s_waitcnt vmcnt(0)
	v_mul_f64 v[69:70], v[3:4], v[7:8]
	s_delay_alu instid0(VALU_DEP_1) | instskip(SKIP_1) | instid1(VALU_DEP_1)
	v_fma_f64 v[9:10], v[1:2], v[5:6], -v[69:70]
	v_mul_f64 v[0:1], v[1:2], v[7:8]
	v_fma_f64 v[0:1], v[3:4], v[5:6], v[0:1]
	s_clause 0x1
	scratch_store_b64 off, v[9:10], off offset:276
	scratch_store_b64 off, v[0:1], off offset:292
	v_add_nc_u32_e32 v0, 0x77, v222
	s_delay_alu instid0(VALU_DEP_1) | instskip(NEXT) | instid1(VALU_DEP_1)
	v_mul_lo_u32 v0, v212, v0
	v_and_b32_e32 v1, 0xff, v0
	v_lshrrev_b32_e32 v0, 4, v0
	s_delay_alu instid0(VALU_DEP_2) | instskip(NEXT) | instid1(VALU_DEP_2)
	v_lshlrev_b32_e32 v1, 4, v1
	v_and_or_b32 v0, v0, s33, 0x1000
	s_clause 0x1
	global_load_b128 v[1:4], v1, s[8:9]
	global_load_b128 v[5:8], v0, s[8:9]
	s_waitcnt vmcnt(0)
	v_mul_f64 v[69:70], v[3:4], v[7:8]
	s_delay_alu instid0(VALU_DEP_1) | instskip(SKIP_1) | instid1(VALU_DEP_1)
	v_fma_f64 v[9:10], v[1:2], v[5:6], -v[69:70]
	v_mul_f64 v[0:1], v[1:2], v[7:8]
	v_fma_f64 v[0:1], v[3:4], v[5:6], v[0:1]
	s_clause 0x1
	scratch_store_b64 off, v[9:10], off offset:176
	scratch_store_b64 off, v[0:1], off offset:192
	v_add_nc_u32_e32 v0, 0x66, v222
	s_delay_alu instid0(VALU_DEP_1) | instskip(NEXT) | instid1(VALU_DEP_1)
	v_mul_lo_u32 v0, v212, v0
	v_and_b32_e32 v1, 0xff, v0
	v_lshrrev_b32_e32 v0, 4, v0
	s_delay_alu instid0(VALU_DEP_2) | instskip(NEXT) | instid1(VALU_DEP_2)
	v_lshlrev_b32_e32 v1, 4, v1
	v_and_or_b32 v0, v0, s33, 0x1000
	s_clause 0x1
	global_load_b128 v[1:4], v1, s[8:9]
	global_load_b128 v[5:8], v0, s[8:9]
	s_waitcnt vmcnt(0)
	v_mul_f64 v[69:70], v[3:4], v[7:8]
	s_delay_alu instid0(VALU_DEP_1) | instskip(SKIP_1) | instid1(VALU_DEP_1)
	v_fma_f64 v[9:10], v[1:2], v[5:6], -v[69:70]
	v_mul_f64 v[0:1], v[1:2], v[7:8]
	v_fma_f64 v[0:1], v[3:4], v[5:6], v[0:1]
	s_clause 0x1
	scratch_store_b64 off, v[9:10], off offset:120
	scratch_store_b64 off, v[0:1], off offset:136
	v_add_nc_u32_e32 v0, 0x55, v222
	s_delay_alu instid0(VALU_DEP_1) | instskip(NEXT) | instid1(VALU_DEP_1)
	v_mul_lo_u32 v0, v212, v0
	v_and_b32_e32 v1, 0xff, v0
	v_lshrrev_b32_e32 v0, 4, v0
	s_delay_alu instid0(VALU_DEP_2) | instskip(NEXT) | instid1(VALU_DEP_2)
	v_lshlrev_b32_e32 v1, 4, v1
	v_and_or_b32 v0, v0, s33, 0x1000
	s_clause 0x1
	global_load_b128 v[1:4], v1, s[8:9]
	global_load_b128 v[5:8], v0, s[8:9]
	s_waitcnt vmcnt(0)
	v_mul_f64 v[69:70], v[3:4], v[7:8]
	s_delay_alu instid0(VALU_DEP_1) | instskip(SKIP_1) | instid1(VALU_DEP_1)
	v_fma_f64 v[9:10], v[1:2], v[5:6], -v[69:70]
	v_mul_f64 v[0:1], v[1:2], v[7:8]
	v_fma_f64 v[0:1], v[3:4], v[5:6], v[0:1]
	s_clause 0x1
	scratch_store_b64 off, v[9:10], off offset:104
	scratch_store_b64 off, v[0:1], off offset:112
	v_add_nc_u32_e32 v0, 0x44, v222
	s_delay_alu instid0(VALU_DEP_1) | instskip(NEXT) | instid1(VALU_DEP_1)
	v_mul_lo_u32 v0, v212, v0
	v_and_b32_e32 v1, 0xff, v0
	v_lshrrev_b32_e32 v0, 4, v0
	s_delay_alu instid0(VALU_DEP_2) | instskip(NEXT) | instid1(VALU_DEP_2)
	v_lshlrev_b32_e32 v1, 4, v1
	v_and_or_b32 v0, v0, s33, 0x1000
	s_clause 0x1
	global_load_b128 v[1:4], v1, s[8:9]
	global_load_b128 v[5:8], v0, s[8:9]
	s_waitcnt vmcnt(0)
	v_mul_f64 v[69:70], v[1:2], v[7:8]
	s_delay_alu instid0(VALU_DEP_1) | instskip(SKIP_1) | instid1(VALU_DEP_1)
	v_fma_f64 v[9:10], v[3:4], v[5:6], v[69:70]
	v_mul_f64 v[3:4], v[3:4], v[7:8]
	v_fma_f64 v[0:1], v[1:2], v[5:6], -v[3:4]
	s_clause 0x1
	scratch_store_b64 off, v[9:10], off offset:96
	scratch_store_b64 off, v[0:1], off offset:88
	v_add_nc_u32_e32 v0, 51, v222
	s_delay_alu instid0(VALU_DEP_1) | instskip(NEXT) | instid1(VALU_DEP_1)
	v_mul_lo_u32 v0, v212, v0
	v_and_b32_e32 v1, 0xff, v0
	v_lshrrev_b32_e32 v0, 4, v0
	s_delay_alu instid0(VALU_DEP_2) | instskip(NEXT) | instid1(VALU_DEP_2)
	v_lshlrev_b32_e32 v1, 4, v1
	v_and_or_b32 v0, v0, s33, 0x1000
	s_clause 0x1
	global_load_b128 v[1:4], v1, s[8:9]
	global_load_b128 v[5:8], v0, s[8:9]
	v_add_nc_u32_e32 v0, 34, v222
	s_delay_alu instid0(VALU_DEP_1) | instskip(SKIP_2) | instid1(VALU_DEP_1)
	v_mul_lo_u32 v0, v212, v0
	s_waitcnt vmcnt(0)
	v_mul_f64 v[69:70], v[1:2], v[7:8]
	v_fma_f64 v[229:230], v[3:4], v[5:6], v[69:70]
	v_mul_f64 v[3:4], v[3:4], v[7:8]
	s_delay_alu instid0(VALU_DEP_1) | instskip(SKIP_2) | instid1(VALU_DEP_2)
	v_fma_f64 v[233:234], v[1:2], v[5:6], -v[3:4]
	v_and_b32_e32 v1, 0xff, v0
	v_lshrrev_b32_e32 v0, 4, v0
	v_lshlrev_b32_e32 v1, 4, v1
	s_delay_alu instid0(VALU_DEP_2) | instskip(SKIP_4) | instid1(VALU_DEP_1)
	v_and_or_b32 v0, v0, s33, 0x1000
	s_clause 0x1
	global_load_b128 v[1:4], v1, s[8:9]
	global_load_b128 v[5:8], v0, s[8:9]
	v_add_nc_u32_e32 v0, 17, v222
	v_mul_lo_u32 v0, v212, v0
	v_add_f64 v[212:213], v[55:56], -v[59:60]
	s_delay_alu instid0(VALU_DEP_1) | instskip(SKIP_2) | instid1(VALU_DEP_1)
	v_mul_f64 v[188:189], v[212:213], s[30:31]
	s_waitcnt vmcnt(0)
	v_mul_f64 v[69:70], v[1:2], v[7:8]
	v_fma_f64 v[231:232], v[3:4], v[5:6], v[69:70]
	v_mul_f64 v[3:4], v[3:4], v[7:8]
	s_delay_alu instid0(VALU_DEP_1) | instskip(SKIP_2) | instid1(VALU_DEP_2)
	v_fma_f64 v[235:236], v[1:2], v[5:6], -v[3:4]
	v_and_b32_e32 v1, 0xff, v0
	v_lshrrev_b32_e32 v0, 4, v0
	v_lshlrev_b32_e32 v1, 4, v1
	s_delay_alu instid0(VALU_DEP_2)
	v_and_or_b32 v0, v0, s33, 0x1000
	s_clause 0x1
	global_load_b128 v[1:4], v1, s[8:9]
	global_load_b128 v[5:8], v0, s[8:9]
	s_clause 0x9
	scratch_store_b64 off, v[27:28], off offset:128
	scratch_store_b64 off, v[84:85], off offset:200
	;; [unrolled: 1-line block ×10, first 2 shown]
	v_mul_f64 v[76:77], v[204:205], s[36:37]
	v_mul_f64 v[22:23], v[212:213], s[34:35]
	;; [unrolled: 1-line block ×7, first 2 shown]
	s_waitcnt vmcnt(0)
	v_mul_f64 v[69:70], v[1:2], v[7:8]
	s_delay_alu instid0(VALU_DEP_1) | instskip(SKIP_2) | instid1(VALU_DEP_2)
	v_fma_f64 v[237:238], v[3:4], v[5:6], v[69:70]
	v_mul_f64 v[3:4], v[3:4], v[7:8]
	v_add_f64 v[70:71], v[96:97], -v[92:93]
	v_fma_f64 v[239:240], v[1:2], v[5:6], -v[3:4]
	v_fma_f64 v[0:1], v[112:113], s[14:15], v[241:242]
	s_delay_alu instid0(VALU_DEP_3)
	v_fma_f64 v[2:3], v[70:71], s[6:7], v[243:244]
	v_dual_mov_b32 v6, v15 :: v_dual_mov_b32 v7, v16
	v_fma_f64 v[4:5], v[118:119], s[2:3], v[247:248]
	s_clause 0x1
	scratch_store_b64 off, v[6:7], off offset:184
	scratch_store_b64 off, v[102:103], off offset:268
	v_add_f64 v[122:123], v[102:103], -v[6:7]
	v_add_f64 v[124:125], v[102:103], v[6:7]
	s_clause 0x3
	scratch_store_b64 off, v[72:73], off offset:208
	scratch_store_b64 off, v[82:83], off offset:300
	scratch_store_b64 off, v[74:75], off offset:236
	scratch_store_b64 off, v[90:91], off offset:308
	v_fma_f64 v[6:7], v[128:129], s[26:27], v[76:77]
	v_mul_f64 v[16:17], v[194:195], s[28:29]
	v_mul_f64 v[82:83], v[198:199], s[56:57]
	;; [unrolled: 1-line block ×4, first 2 shown]
	v_fma_f64 v[76:77], v[128:129], s[26:27], -v[76:77]
	v_add_f64 v[0:1], v[31:32], v[0:1]
	v_fma_f64 v[104:105], v[122:123], s[50:51], v[120:121]
	s_delay_alu instid0(VALU_DEP_2) | instskip(SKIP_1) | instid1(VALU_DEP_1)
	v_add_f64 v[0:1], v[2:3], v[0:1]
	v_fma_f64 v[2:3], v[114:115], s[12:13], v[245:246]
	v_add_f64 v[2:3], v[29:30], v[2:3]
	s_delay_alu instid0(VALU_DEP_1) | instskip(SKIP_1) | instid1(VALU_DEP_1)
	v_add_f64 v[2:3], v[4:5], v[2:3]
	v_fma_f64 v[4:5], v[122:123], s[46:47], v[249:250]
	v_add_f64 v[0:1], v[4:5], v[0:1]
	v_fma_f64 v[4:5], v[124:125], s[16:17], v[251:252]
	s_delay_alu instid0(VALU_DEP_1) | instskip(SKIP_1) | instid1(VALU_DEP_2)
	v_add_f64 v[2:3], v[4:5], v[2:3]
	v_fma_f64 v[4:5], v[126:127], s[44:45], v[253:254]
	v_add_f64 v[2:3], v[6:7], v[2:3]
	s_delay_alu instid0(VALU_DEP_2)
	v_add_f64 v[0:1], v[4:5], v[0:1]
	v_dual_mov_b32 v4, v37 :: v_dual_mov_b32 v5, v38
	s_clause 0x1
	scratch_store_b64 off, v[4:5], off offset:332
	scratch_store_b64 off, v[65:66], off offset:260
	v_add_f64 v[206:207], v[4:5], v[65:66]
	v_add_f64 v[208:209], v[4:5], -v[65:66]
	s_clause 0x1
	scratch_store_b64 off, v[63:64], off offset:340
	scratch_store_b64 off, v[67:68], off offset:284
	v_mul_f64 v[65:66], v[212:213], s[42:43]
	s_clause 0x3
	scratch_store_b64 off, v[55:56], off offset:348
	scratch_store_b64 off, v[59:60], off offset:316
	;; [unrolled: 1-line block ×4, first 2 shown]
	v_mul_f64 v[61:62], v[216:217], s[30:31]
	v_add_f64 v[4:5], v[33:34], v[39:40]
	v_mul_f64 v[55:56], v[172:173], s[2:3]
	s_clause 0x1
	scratch_store_b64 off, v[45:46], off offset:396
	scratch_store_b64 off, v[49:50], off offset:356
	v_mul_f64 v[49:50], v[184:185], s[48:49]
	s_clause 0x5
	scratch_store_b64 off, v[47:48], off offset:404
	scratch_store_b64 off, v[51:52], off offset:380
	;; [unrolled: 1-line block ×6, first 2 shown]
	v_mul_f64 v[43:44], v[196:197], s[36:37]
	v_mul_f64 v[47:48], v[194:195], s[10:11]
	;; [unrolled: 1-line block ×19, first 2 shown]
	v_fma_f64 v[37:38], v[130:131], s[34:35], v[72:73]
	v_fma_f64 v[72:73], v[130:131], s[50:51], v[72:73]
	s_delay_alu instid0(VALU_DEP_2) | instskip(SKIP_2) | instid1(VALU_DEP_2)
	v_add_f64 v[0:1], v[37:38], v[0:1]
	v_fma_f64 v[37:38], v[132:133], s[22:23], v[67:68]
	v_fma_f64 v[67:68], v[132:133], s[22:23], -v[67:68]
	v_add_f64 v[2:3], v[37:38], v[2:3]
	v_fma_f64 v[37:38], v[134:135], s[24:25], v[160:161]
	s_delay_alu instid0(VALU_DEP_1) | instskip(SKIP_2) | instid1(VALU_DEP_2)
	v_add_f64 v[0:1], v[37:38], v[0:1]
	v_fma_f64 v[37:38], v[138:139], s[10:11], v[65:66]
	v_fma_f64 v[65:66], v[138:139], s[10:11], -v[65:66]
	v_add_f64 v[2:3], v[37:38], v[2:3]
	v_fma_f64 v[37:38], v[142:143], s[52:53], v[162:163]
	s_delay_alu instid0(VALU_DEP_1) | instskip(SKIP_2) | instid1(VALU_DEP_2)
	v_add_f64 v[0:1], v[37:38], v[0:1]
	v_fma_f64 v[37:38], v[144:145], s[18:19], v[61:62]
	v_fma_f64 v[61:62], v[144:145], s[18:19], -v[61:62]
	v_add_f64 v[2:3], v[37:38], v[2:3]
	v_fma_f64 v[37:38], v[146:147], s[28:29], v[164:165]
	s_delay_alu instid0(VALU_DEP_1) | instskip(SKIP_1) | instid1(VALU_DEP_1)
	v_add_f64 v[2:3], v[37:38], v[2:3]
	v_fma_f64 v[37:38], v[148:149], s[56:57], v[166:167]
	v_add_f64 v[0:1], v[37:38], v[0:1]
	s_delay_alu instid0(VALU_DEP_3) | instskip(NEXT) | instid1(VALU_DEP_2)
	v_mul_f64 v[37:38], v[2:3], v[11:12]
	v_mul_f64 v[10:11], v[0:1], v[11:12]
	s_delay_alu instid0(VALU_DEP_2)
	v_fma_f64 v[8:9], v[0:1], v[41:42], v[37:38]
	v_fma_f64 v[37:38], v[118:119], s[26:27], v[43:44]
	v_mul_f64 v[12:13], v[206:207], s[2:3]
	v_fma_f64 v[43:44], v[118:119], s[26:27], -v[43:44]
	v_fma_f64 v[6:7], v[2:3], v[41:42], -v[10:11]
	v_fma_f64 v[2:3], v[112:113], s[6:7], v[55:56]
	v_fma_f64 v[10:11], v[70:71], s[44:45], v[223:224]
	v_mul_f64 v[41:42], v[210:211], s[22:23]
	v_fma_f64 v[55:56], v[112:113], s[48:49], v[55:56]
	s_delay_alu instid0(VALU_DEP_4) | instskip(NEXT) | instid1(VALU_DEP_2)
	v_add_f64 v[2:3], v[31:32], v[2:3]
	v_add_f64 v[55:56], v[31:32], v[55:56]
	s_delay_alu instid0(VALU_DEP_2) | instskip(SKIP_2) | instid1(VALU_DEP_2)
	v_add_f64 v[2:3], v[10:11], v[2:3]
	v_fma_f64 v[10:11], v[114:115], s[2:3], v[49:50]
	v_fma_f64 v[49:50], v[114:115], s[2:3], -v[49:50]
	v_add_f64 v[10:11], v[29:30], v[10:11]
	s_delay_alu instid0(VALU_DEP_2) | instskip(NEXT) | instid1(VALU_DEP_2)
	v_add_f64 v[49:50], v[29:30], v[49:50]
	v_add_f64 v[10:11], v[37:38], v[10:11]
	v_fma_f64 v[37:38], v[122:123], s[24:25], v[47:48]
	s_delay_alu instid0(VALU_DEP_3) | instskip(SKIP_2) | instid1(VALU_DEP_4)
	v_add_f64 v[43:44], v[43:44], v[49:50]
	v_fma_f64 v[47:48], v[122:123], s[42:43], v[47:48]
	v_mul_f64 v[49:50], v[216:217], s[38:39]
	v_add_f64 v[2:3], v[37:38], v[2:3]
	v_fma_f64 v[37:38], v[124:125], s[10:11], v[39:40]
	v_fma_f64 v[39:40], v[124:125], s[10:11], -v[39:40]
	s_delay_alu instid0(VALU_DEP_2) | instskip(SKIP_1) | instid1(VALU_DEP_3)
	v_add_f64 v[10:11], v[37:38], v[10:11]
	v_fma_f64 v[37:38], v[126:127], s[56:57], v[35:36]
	v_add_f64 v[39:40], v[39:40], v[43:44]
	v_fma_f64 v[35:36], v[126:127], s[38:39], v[35:36]
	v_mul_f64 v[43:44], v[210:211], s[2:3]
	s_delay_alu instid0(VALU_DEP_4) | instskip(SKIP_2) | instid1(VALU_DEP_2)
	v_add_f64 v[2:3], v[37:38], v[2:3]
	v_fma_f64 v[37:38], v[128:129], s[28:29], v[33:34]
	v_fma_f64 v[33:34], v[128:129], s[28:29], -v[33:34]
	v_add_f64 v[10:11], v[37:38], v[10:11]
	v_fma_f64 v[37:38], v[130:131], s[30:31], v[26:27]
	s_delay_alu instid0(VALU_DEP_3) | instskip(SKIP_2) | instid1(VALU_DEP_4)
	v_add_f64 v[33:34], v[33:34], v[39:40]
	v_fma_f64 v[26:27], v[130:131], s[52:53], v[26:27]
	v_mul_f64 v[39:40], v[206:207], s[26:27]
	v_add_f64 v[2:3], v[37:38], v[2:3]
	v_fma_f64 v[37:38], v[132:133], s[18:19], v[24:25]
	v_fma_f64 v[24:25], v[132:133], s[18:19], -v[24:25]
	s_delay_alu instid0(VALU_DEP_2) | instskip(SKIP_1) | instid1(VALU_DEP_3)
	v_add_f64 v[10:11], v[37:38], v[10:11]
	v_fma_f64 v[37:38], v[134:135], s[50:51], v[41:42]
	v_add_f64 v[24:25], v[24:25], v[33:34]
	v_fma_f64 v[33:34], v[134:135], s[34:35], v[41:42]
	v_mul_f64 v[41:42], v[208:209], s[44:45]
	s_delay_alu instid0(VALU_DEP_4) | instskip(SKIP_2) | instid1(VALU_DEP_2)
	v_add_f64 v[2:3], v[37:38], v[2:3]
	v_fma_f64 v[37:38], v[138:139], s[22:23], v[22:23]
	v_fma_f64 v[22:23], v[138:139], s[22:23], -v[22:23]
	v_add_f64 v[10:11], v[37:38], v[10:11]
	v_mul_f64 v[37:38], v[214:215], s[16:17]
	s_delay_alu instid0(VALU_DEP_3) | instskip(SKIP_1) | instid1(VALU_DEP_3)
	v_add_f64 v[22:23], v[22:23], v[24:25]
	v_fma_f64 v[24:25], v[144:145], s[16:17], -v[220:221]
	v_fma_f64 v[51:52], v[142:143], s[20:21], v[37:38]
	s_delay_alu instid0(VALU_DEP_2) | instskip(SKIP_2) | instid1(VALU_DEP_4)
	v_add_f64 v[22:23], v[24:25], v[22:23]
	v_fma_f64 v[24:25], v[142:143], s[46:47], v[37:38]
	v_mul_f64 v[37:38], v[204:205], s[30:31]
	v_add_f64 v[2:3], v[51:52], v[2:3]
	v_fma_f64 v[51:52], v[144:145], s[16:17], v[220:221]
	s_delay_alu instid0(VALU_DEP_1) | instskip(SKIP_1) | instid1(VALU_DEP_1)
	v_add_f64 v[10:11], v[51:52], v[10:11]
	v_fma_f64 v[51:52], v[146:147], s[12:13], v[45:46]
	v_add_f64 v[10:11], v[51:52], v[10:11]
	v_fma_f64 v[51:52], v[148:149], s[40:41], v[20:21]
	v_fma_f64 v[20:21], v[148:149], s[14:15], v[20:21]
	s_delay_alu instid0(VALU_DEP_2) | instskip(NEXT) | instid1(VALU_DEP_4)
	v_add_f64 v[2:3], v[51:52], v[2:3]
	v_mul_f64 v[51:52], v[10:11], v[53:54]
	s_delay_alu instid0(VALU_DEP_2) | instskip(NEXT) | instid1(VALU_DEP_2)
	v_mul_f64 v[53:54], v[2:3], v[53:54]
	v_fma_f64 v[2:3], v[2:3], v[158:159], v[51:52]
	v_mul_f64 v[51:52], v[172:173], s[16:17]
	s_delay_alu instid0(VALU_DEP_3)
	v_fma_f64 v[0:1], v[10:11], v[158:159], -v[53:54]
	scratch_store_b128 off, v[6:9], off offset:8 ; 16-byte Folded Spill
	v_fma_f64 v[10:11], v[70:71], s[24:25], v[59:60]
	v_fma_f64 v[53:54], v[118:119], s[10:11], v[57:58]
	v_mul_f64 v[8:9], v[208:209], s[6:7]
	v_mul_f64 v[6:7], v[212:213], s[40:41]
	;; [unrolled: 1-line block ×3, first 2 shown]
	scratch_store_b128 off, v[0:3], off offset:24 ; 16-byte Folded Spill
	v_fma_f64 v[2:3], v[112:113], s[46:47], v[51:52]
	v_mul_f64 v[0:1], v[218:219], s[30:31]
	v_fma_f64 v[102:103], v[118:119], s[28:29], v[158:159]
	s_delay_alu instid0(VALU_DEP_3) | instskip(NEXT) | instid1(VALU_DEP_1)
	v_add_f64 v[2:3], v[31:32], v[2:3]
	v_add_f64 v[2:3], v[10:11], v[2:3]
	v_fma_f64 v[10:11], v[114:115], s[16:17], v[18:19]
	v_fma_f64 v[18:19], v[114:115], s[16:17], -v[18:19]
	s_delay_alu instid0(VALU_DEP_2) | instskip(NEXT) | instid1(VALU_DEP_2)
	v_add_f64 v[10:11], v[29:30], v[10:11]
	v_add_f64 v[18:19], v[29:30], v[18:19]
	s_delay_alu instid0(VALU_DEP_2) | instskip(SKIP_2) | instid1(VALU_DEP_2)
	v_add_f64 v[10:11], v[53:54], v[10:11]
	v_fma_f64 v[53:54], v[122:123], s[38:39], v[16:17]
	v_fma_f64 v[16:17], v[122:123], s[56:57], v[16:17]
	v_add_f64 v[2:3], v[53:54], v[2:3]
	v_fma_f64 v[53:54], v[124:125], s[28:29], v[82:83]
	s_delay_alu instid0(VALU_DEP_1) | instskip(SKIP_2) | instid1(VALU_DEP_2)
	v_add_f64 v[10:11], v[53:54], v[10:11]
	v_fma_f64 v[53:54], v[126:127], s[50:51], v[14:15]
	v_fma_f64 v[14:15], v[126:127], s[34:35], v[14:15]
	v_add_f64 v[2:3], v[53:54], v[2:3]
	v_fma_f64 v[53:54], v[128:129], s[22:23], v[63:64]
	s_delay_alu instid0(VALU_DEP_1) | instskip(SKIP_2) | instid1(VALU_DEP_2)
	v_add_f64 v[10:11], v[53:54], v[10:11]
	v_fma_f64 v[53:54], v[130:131], s[48:49], v[12:13]
	v_fma_f64 v[12:13], v[130:131], s[6:7], v[12:13]
	v_add_f64 v[2:3], v[53:54], v[2:3]
	v_fma_f64 v[53:54], v[132:133], s[2:3], v[8:9]
	v_fma_f64 v[8:9], v[132:133], s[2:3], -v[8:9]
	s_delay_alu instid0(VALU_DEP_2) | instskip(SKIP_1) | instid1(VALU_DEP_1)
	v_add_f64 v[10:11], v[53:54], v[10:11]
	v_fma_f64 v[53:54], v[134:135], s[14:15], v[106:107]
	v_add_f64 v[2:3], v[53:54], v[2:3]
	v_fma_f64 v[53:54], v[138:139], s[12:13], v[6:7]
	v_fma_f64 v[6:7], v[138:139], s[12:13], -v[6:7]
	s_delay_alu instid0(VALU_DEP_2) | instskip(SKIP_1) | instid1(VALU_DEP_1)
	v_add_f64 v[10:11], v[53:54], v[10:11]
	v_fma_f64 v[53:54], v[142:143], s[44:45], v[84:85]
	v_add_f64 v[2:3], v[53:54], v[2:3]
	v_fma_f64 v[53:54], v[144:145], s[26:27], v[74:75]
	s_delay_alu instid0(VALU_DEP_1) | instskip(SKIP_2) | instid1(VALU_DEP_2)
	v_add_f64 v[10:11], v[53:54], v[10:11]
	v_fma_f64 v[53:54], v[146:147], s[18:19], v[0:1]
	v_fma_f64 v[0:1], v[146:147], s[18:19], -v[0:1]
	v_add_f64 v[10:11], v[53:54], v[10:11]
	v_fma_f64 v[53:54], v[148:149], s[52:53], v[96:97]
	s_delay_alu instid0(VALU_DEP_1) | instskip(NEXT) | instid1(VALU_DEP_3)
	v_add_f64 v[2:3], v[53:54], v[2:3]
	v_mul_f64 v[53:54], v[10:11], v[86:87]
	s_delay_alu instid0(VALU_DEP_2) | instskip(NEXT) | instid1(VALU_DEP_2)
	v_mul_f64 v[86:87], v[2:3], v[86:87]
	v_fma_f64 v[92:93], v[2:3], v[78:79], v[53:54]
	v_mul_f64 v[2:3], v[172:173], s[26:27]
	v_mul_f64 v[53:54], v[216:217], s[40:41]
	s_delay_alu instid0(VALU_DEP_4)
	v_fma_f64 v[90:91], v[10:11], v[78:79], -v[86:87]
	v_mul_f64 v[10:11], v[182:183], s[28:29]
	scratch_store_b64 off, v[2:3], off offset:460 ; 8-byte Folded Spill
	v_fma_f64 v[2:3], v[112:113], s[44:45], v[2:3]
	v_mul_f64 v[78:79], v[212:213], s[44:45]
	s_clause 0x1
	scratch_store_b128 off, v[90:93], off offset:56
	scratch_store_b64 off, v[10:11], off offset:452
	v_fma_f64 v[10:11], v[70:71], s[56:57], v[10:11]
	v_add_f64 v[2:3], v[31:32], v[2:3]
	v_mul_f64 v[92:93], v[206:207], s[28:29]
	s_delay_alu instid0(VALU_DEP_2) | instskip(SKIP_2) | instid1(VALU_DEP_3)
	v_add_f64 v[86:87], v[10:11], v[2:3]
	v_fma_f64 v[2:3], v[114:115], s[26:27], v[136:137]
	v_mul_f64 v[10:11], v[218:219], s[42:43]
	v_add_f64 v[86:87], v[104:105], v[86:87]
	s_delay_alu instid0(VALU_DEP_3) | instskip(SKIP_1) | instid1(VALU_DEP_2)
	v_add_f64 v[2:3], v[29:30], v[2:3]
	v_fma_f64 v[104:105], v[124:125], s[22:23], v[170:171]
	v_add_f64 v[102:103], v[102:103], v[2:3]
	v_mul_f64 v[2:3], v[4:5], s[10:11]
	s_delay_alu instid0(VALU_DEP_2) | instskip(SKIP_1) | instid1(VALU_DEP_1)
	v_add_f64 v[102:103], v[104:105], v[102:103]
	v_fma_f64 v[104:105], v[126:127], s[40:41], v[168:169]
	v_add_f64 v[86:87], v[104:105], v[86:87]
	v_fma_f64 v[104:105], v[128:129], s[12:13], v[176:177]
	s_delay_alu instid0(VALU_DEP_1) | instskip(SKIP_1) | instid1(VALU_DEP_1)
	v_add_f64 v[102:103], v[104:105], v[102:103]
	v_fma_f64 v[104:105], v[130:131], s[46:47], v[174:175]
	v_add_f64 v[86:87], v[104:105], v[86:87]
	v_fma_f64 v[104:105], v[132:133], s[16:17], v[180:181]
	s_delay_alu instid0(VALU_DEP_1) | instskip(SKIP_1) | instid1(VALU_DEP_1)
	;; [unrolled: 5-line block ×4, first 2 shown]
	v_add_f64 v[102:103], v[104:105], v[102:103]
	v_fma_f64 v[104:105], v[146:147], s[2:3], v[190:191]
	v_add_f64 v[102:103], v[104:105], v[102:103]
	v_fma_f64 v[104:105], v[148:149], s[48:49], v[200:201]
	s_delay_alu instid0(VALU_DEP_1) | instskip(NEXT) | instid1(VALU_DEP_3)
	v_add_f64 v[86:87], v[104:105], v[86:87]
	v_mul_f64 v[104:105], v[102:103], v[88:89]
	s_delay_alu instid0(VALU_DEP_2) | instskip(NEXT) | instid1(VALU_DEP_2)
	v_mul_f64 v[88:89], v[86:87], v[88:89]
	v_fma_f64 v[90:91], v[86:87], v[80:81], v[104:105]
	v_fma_f64 v[86:87], v[112:113], s[34:35], v[116:117]
	;; [unrolled: 1-line block ×3, first 2 shown]
	s_delay_alu instid0(VALU_DEP_4) | instskip(SKIP_1) | instid1(VALU_DEP_4)
	v_fma_f64 v[88:89], v[102:103], v[80:81], -v[88:89]
	v_mul_f64 v[102:103], v[196:197], s[52:53]
	v_add_f64 v[86:87], v[31:32], v[86:87]
	v_mul_f64 v[80:81], v[210:211], s[26:27]
	scratch_store_b128 off, v[88:91], off offset:72 ; 16-byte Folded Spill
	v_fma_f64 v[88:89], v[70:71], s[30:31], v[110:111]
	v_fma_f64 v[140:141], v[118:119], s[18:19], v[102:103]
	v_mul_f64 v[90:91], v[208:209], s[38:39]
	s_delay_alu instid0(VALU_DEP_3) | instskip(SKIP_1) | instid1(VALU_DEP_1)
	v_add_f64 v[86:87], v[88:89], v[86:87]
	v_fma_f64 v[88:89], v[114:115], s[22:23], v[108:109]
	v_add_f64 v[88:89], v[29:30], v[88:89]
	s_delay_alu instid0(VALU_DEP_1) | instskip(SKIP_1) | instid1(VALU_DEP_1)
	v_add_f64 v[88:89], v[140:141], v[88:89]
	v_mul_f64 v[140:141], v[194:195], s[2:3]
	v_fma_f64 v[150:151], v[122:123], s[48:49], v[140:141]
	s_delay_alu instid0(VALU_DEP_1) | instskip(SKIP_1) | instid1(VALU_DEP_1)
	v_add_f64 v[86:87], v[150:151], v[86:87]
	v_fma_f64 v[150:151], v[124:125], s[2:3], v[100:101]
	v_add_f64 v[88:89], v[150:151], v[88:89]
	v_fma_f64 v[150:151], v[126:127], s[46:47], v[98:99]
	s_delay_alu instid0(VALU_DEP_1) | instskip(SKIP_1) | instid1(VALU_DEP_1)
	v_add_f64 v[86:87], v[150:151], v[86:87]
	v_fma_f64 v[150:151], v[128:129], s[16:17], v[94:95]
	v_add_f64 v[88:89], v[150:151], v[88:89]
	;; [unrolled: 5-line block ×3, first 2 shown]
	v_fma_f64 v[150:151], v[134:135], s[36:37], v[80:81]
	s_delay_alu instid0(VALU_DEP_2) | instskip(SKIP_1) | instid1(VALU_DEP_3)
	v_add_f64 v[88:89], v[104:105], v[88:89]
	v_mul_f64 v[104:105], v[214:215], s[12:13]
	v_add_f64 v[86:87], v[150:151], v[86:87]
	s_delay_alu instid0(VALU_DEP_2) | instskip(NEXT) | instid1(VALU_DEP_1)
	v_fma_f64 v[150:151], v[142:143], s[14:15], v[104:105]
	v_add_f64 v[86:87], v[150:151], v[86:87]
	v_fma_f64 v[150:151], v[144:145], s[12:13], v[53:54]
	s_delay_alu instid0(VALU_DEP_1) | instskip(SKIP_1) | instid1(VALU_DEP_1)
	v_add_f64 v[88:89], v[150:151], v[88:89]
	v_fma_f64 v[150:151], v[146:147], s[10:11], v[10:11]
	v_add_f64 v[150:151], v[150:151], v[88:89]
	v_fma_f64 v[88:89], v[148:149], s[24:25], v[2:3]
	v_fma_f64 v[2:3], v[148:149], s[42:43], v[2:3]
	s_delay_alu instid0(VALU_DEP_2) | instskip(NEXT) | instid1(VALU_DEP_4)
	v_add_f64 v[86:87], v[88:89], v[86:87]
	v_mul_f64 v[88:89], v[150:151], v[227:228]
	s_delay_alu instid0(VALU_DEP_2) | instskip(NEXT) | instid1(VALU_DEP_2)
	v_mul_f64 v[227:228], v[86:87], v[227:228]
	v_fma_f64 v[88:89], v[86:87], v[225:226], v[88:89]
	s_delay_alu instid0(VALU_DEP_2) | instskip(SKIP_3) | instid1(VALU_DEP_3)
	v_fma_f64 v[86:87], v[150:151], v[225:226], -v[227:228]
	v_fma_f64 v[150:151], v[112:113], s[40:41], v[241:242]
	v_fma_f64 v[225:226], v[70:71], s[48:49], v[243:244]
	v_fma_f64 v[227:228], v[118:119], s[2:3], -v[247:248]
	v_add_f64 v[150:151], v[31:32], v[150:151]
	s_delay_alu instid0(VALU_DEP_1) | instskip(SKIP_1) | instid1(VALU_DEP_1)
	v_add_f64 v[150:151], v[225:226], v[150:151]
	v_fma_f64 v[225:226], v[114:115], s[12:13], -v[245:246]
	v_add_f64 v[225:226], v[29:30], v[225:226]
	s_delay_alu instid0(VALU_DEP_1) | instskip(SKIP_1) | instid1(VALU_DEP_1)
	v_add_f64 v[225:226], v[227:228], v[225:226]
	v_fma_f64 v[227:228], v[122:123], s[20:21], v[249:250]
	v_add_f64 v[150:151], v[227:228], v[150:151]
	v_fma_f64 v[227:228], v[124:125], s[16:17], -v[251:252]
	s_delay_alu instid0(VALU_DEP_1) | instskip(SKIP_1) | instid1(VALU_DEP_2)
	v_add_f64 v[225:226], v[227:228], v[225:226]
	v_fma_f64 v[227:228], v[126:127], s[36:37], v[253:254]
	v_add_f64 v[76:77], v[76:77], v[225:226]
	s_delay_alu instid0(VALU_DEP_2) | instskip(NEXT) | instid1(VALU_DEP_2)
	v_add_f64 v[150:151], v[227:228], v[150:151]
	v_add_f64 v[67:68], v[67:68], v[76:77]
	s_delay_alu instid0(VALU_DEP_2) | instskip(SKIP_1) | instid1(VALU_DEP_3)
	v_add_f64 v[72:73], v[72:73], v[150:151]
	v_fma_f64 v[76:77], v[134:135], s[42:43], v[160:161]
	v_add_f64 v[65:66], v[65:66], v[67:68]
	v_fma_f64 v[67:68], v[142:143], s[30:31], v[162:163]
	s_delay_alu instid0(VALU_DEP_3) | instskip(SKIP_1) | instid1(VALU_DEP_4)
	v_add_f64 v[72:73], v[76:77], v[72:73]
	v_mul_f64 v[76:77], v[208:209], s[40:41]
	v_add_f64 v[61:62], v[61:62], v[65:66]
	v_fma_f64 v[65:66], v[146:147], s[28:29], -v[164:165]
	s_delay_alu instid0(VALU_DEP_4) | instskip(SKIP_1) | instid1(VALU_DEP_3)
	v_add_f64 v[67:68], v[67:68], v[72:73]
	v_mul_f64 v[164:165], v[218:219], s[50:51]
	v_add_f64 v[61:62], v[65:66], v[61:62]
	v_fma_f64 v[65:66], v[148:149], s[38:39], v[166:167]
	v_mul_f64 v[166:167], v[4:5], s[22:23]
	s_delay_alu instid0(VALU_DEP_2) | instskip(NEXT) | instid1(VALU_DEP_4)
	v_add_f64 v[65:66], v[65:66], v[67:68]
	v_mul_f64 v[67:68], v[237:238], v[61:62]
	s_delay_alu instid0(VALU_DEP_2) | instskip(NEXT) | instid1(VALU_DEP_2)
	v_mul_f64 v[72:73], v[237:238], v[65:66]
	v_fma_f64 v[162:163], v[239:240], v[65:66], v[67:68]
	v_mul_f64 v[65:66], v[198:199], s[36:37]
	v_mul_f64 v[67:68], v[202:203], s[10:11]
	s_delay_alu instid0(VALU_DEP_4) | instskip(SKIP_2) | instid1(VALU_DEP_2)
	v_fma_f64 v[160:161], v[239:240], v[61:62], -v[72:73]
	v_fma_f64 v[61:62], v[70:71], s[36:37], v[223:224]
	v_mul_f64 v[72:73], v[204:205], s[24:25]
	v_add_f64 v[55:56], v[61:62], v[55:56]
	v_mul_f64 v[61:62], v[196:197], s[46:47]
	s_delay_alu instid0(VALU_DEP_2) | instskip(SKIP_2) | instid1(VALU_DEP_3)
	v_add_f64 v[47:48], v[47:48], v[55:56]
	v_mul_f64 v[55:56], v[4:5], s[16:17]
	v_mul_f64 v[4:5], v[4:5], s[26:27]
	v_add_f64 v[35:36], v[35:36], v[47:48]
	v_mul_f64 v[47:48], v[214:215], s[28:29]
	s_delay_alu instid0(VALU_DEP_2) | instskip(SKIP_1) | instid1(VALU_DEP_2)
	v_add_f64 v[26:27], v[26:27], v[35:36]
	v_mul_f64 v[35:36], v[202:203], s[18:19]
	v_add_f64 v[26:27], v[33:34], v[26:27]
	v_mul_f64 v[33:34], v[198:199], s[40:41]
	s_delay_alu instid0(VALU_DEP_2) | instskip(SKIP_2) | instid1(VALU_DEP_3)
	v_add_f64 v[24:25], v[24:25], v[26:27]
	v_fma_f64 v[26:27], v[146:147], s[12:13], -v[45:46]
	v_mul_f64 v[45:46], v[212:213], s[48:49]
	v_add_f64 v[20:21], v[20:21], v[24:25]
	s_delay_alu instid0(VALU_DEP_3) | instskip(NEXT) | instid1(VALU_DEP_2)
	v_add_f64 v[22:23], v[26:27], v[22:23]
	v_mul_f64 v[26:27], v[231:232], v[20:21]
	s_delay_alu instid0(VALU_DEP_2) | instskip(NEXT) | instid1(VALU_DEP_2)
	v_mul_f64 v[24:25], v[231:232], v[22:23]
	v_fma_f64 v[225:226], v[235:236], v[22:23], -v[26:27]
	s_delay_alu instid0(VALU_DEP_2)
	v_fma_f64 v[227:228], v[235:236], v[20:21], v[24:25]
	v_fma_f64 v[20:21], v[112:113], s[20:21], v[51:52]
	;; [unrolled: 1-line block ×3, first 2 shown]
	v_mul_f64 v[51:52], v[218:219], s[46:47]
	v_mul_f64 v[59:60], v[184:185], s[30:31]
	v_fma_f64 v[27:28], v[118:119], s[16:17], v[61:62]
	v_add_f64 v[20:21], v[31:32], v[20:21]
	s_delay_alu instid0(VALU_DEP_1) | instskip(SKIP_2) | instid1(VALU_DEP_3)
	v_add_f64 v[20:21], v[22:23], v[20:21]
	v_fma_f64 v[22:23], v[118:119], s[10:11], -v[57:58]
	v_mul_f64 v[57:58], v[182:183], s[16:17]
	v_add_f64 v[16:17], v[16:17], v[20:21]
	s_delay_alu instid0(VALU_DEP_3) | instskip(SKIP_2) | instid1(VALU_DEP_4)
	v_add_f64 v[18:19], v[22:23], v[18:19]
	v_fma_f64 v[20:21], v[124:125], s[28:29], -v[82:83]
	v_mul_f64 v[82:83], v[210:211], s[28:29]
	v_add_f64 v[14:15], v[14:15], v[16:17]
	v_fma_f64 v[16:17], v[128:129], s[22:23], -v[63:64]
	s_delay_alu instid0(VALU_DEP_4) | instskip(SKIP_1) | instid1(VALU_DEP_4)
	v_add_f64 v[18:19], v[20:21], v[18:19]
	v_mul_f64 v[63:64], v[194:195], s[26:27]
	v_add_f64 v[12:13], v[12:13], v[14:15]
	v_fma_f64 v[14:15], v[134:135], s[40:41], v[106:107]
	s_delay_alu instid0(VALU_DEP_4) | instskip(SKIP_1) | instid1(VALU_DEP_3)
	v_add_f64 v[16:17], v[16:17], v[18:19]
	v_mul_f64 v[106:107], v[216:217], s[6:7]
	v_add_f64 v[12:13], v[14:15], v[12:13]
	s_delay_alu instid0(VALU_DEP_3) | instskip(SKIP_1) | instid1(VALU_DEP_2)
	v_add_f64 v[8:9], v[8:9], v[16:17]
	v_mul_f64 v[16:17], v[196:197], s[34:35]
	v_add_f64 v[6:7], v[6:7], v[8:9]
	v_fma_f64 v[8:9], v[142:143], s[36:37], v[84:85]
	s_delay_alu instid0(VALU_DEP_3) | instskip(SKIP_1) | instid1(VALU_DEP_3)
	v_fma_f64 v[18:19], v[118:119], s[22:23], v[16:17]
	v_mul_f64 v[84:85], v[212:213], s[38:39]
	v_add_f64 v[8:9], v[8:9], v[12:13]
	v_fma_f64 v[12:13], v[144:145], s[26:27], -v[74:75]
	v_mul_f64 v[74:75], v[206:207], s[12:13]
	s_delay_alu instid0(VALU_DEP_2) | instskip(NEXT) | instid1(VALU_DEP_1)
	v_add_f64 v[6:7], v[12:13], v[6:7]
	v_add_f64 v[0:1], v[0:1], v[6:7]
	v_fma_f64 v[6:7], v[148:149], s[30:31], v[96:97]
	v_mul_f64 v[96:97], v[214:215], s[2:3]
	s_delay_alu instid0(VALU_DEP_2) | instskip(NEXT) | instid1(VALU_DEP_4)
	v_add_f64 v[6:7], v[6:7], v[8:9]
	v_mul_f64 v[8:9], v[0:1], v[229:230]
	s_delay_alu instid0(VALU_DEP_2) | instskip(NEXT) | instid1(VALU_DEP_2)
	v_mul_f64 v[12:13], v[6:7], v[229:230]
	v_fma_f64 v[231:232], v[6:7], v[233:234], v[8:9]
	v_mul_f64 v[8:9], v[182:183], s[22:23]
	s_delay_alu instid0(VALU_DEP_3) | instskip(SKIP_1) | instid1(VALU_DEP_3)
	v_fma_f64 v[229:230], v[0:1], v[233:234], -v[12:13]
	v_mul_f64 v[0:1], v[172:173], s[10:11]
	v_fma_f64 v[12:13], v[70:71], s[50:51], v[8:9]
	s_delay_alu instid0(VALU_DEP_2) | instskip(SKIP_1) | instid1(VALU_DEP_2)
	v_fma_f64 v[6:7], v[112:113], s[24:25], v[0:1]
	v_fma_f64 v[0:1], v[112:113], s[42:43], v[0:1]
	v_add_f64 v[6:7], v[31:32], v[6:7]
	s_delay_alu instid0(VALU_DEP_2) | instskip(NEXT) | instid1(VALU_DEP_2)
	v_add_f64 v[0:1], v[31:32], v[0:1]
	v_add_f64 v[6:7], v[12:13], v[6:7]
	v_mul_f64 v[12:13], v[184:185], s[42:43]
	s_delay_alu instid0(VALU_DEP_1) | instskip(NEXT) | instid1(VALU_DEP_1)
	v_fma_f64 v[14:15], v[114:115], s[10:11], v[12:13]
	v_add_f64 v[14:15], v[29:30], v[14:15]
	s_delay_alu instid0(VALU_DEP_1) | instskip(SKIP_1) | instid1(VALU_DEP_1)
	v_add_f64 v[14:15], v[18:19], v[14:15]
	v_mul_f64 v[18:19], v[194:195], s[12:13]
	v_fma_f64 v[20:21], v[122:123], s[14:15], v[18:19]
	s_delay_alu instid0(VALU_DEP_1) | instskip(SKIP_1) | instid1(VALU_DEP_1)
	v_add_f64 v[6:7], v[20:21], v[6:7]
	v_fma_f64 v[20:21], v[124:125], s[12:13], v[33:34]
	v_add_f64 v[14:15], v[20:21], v[14:15]
	v_fma_f64 v[20:21], v[126:127], s[52:53], v[35:36]
	s_delay_alu instid0(VALU_DEP_1) | instskip(SKIP_1) | instid1(VALU_DEP_1)
	v_add_f64 v[6:7], v[20:21], v[6:7]
	v_fma_f64 v[20:21], v[128:129], s[18:19], v[37:38]
	v_add_f64 v[14:15], v[20:21], v[14:15]
	;; [unrolled: 5-line block ×6, first 2 shown]
	s_delay_alu instid0(VALU_DEP_3) | instskip(NEXT) | instid1(VALU_DEP_2)
	v_mul_f64 v[20:21], v[14:15], v[152:153]
	v_mul_f64 v[25:26], v[6:7], v[152:153]
	s_delay_alu instid0(VALU_DEP_2)
	v_fma_f64 v[23:24], v[6:7], v[154:155], v[20:21]
	v_mul_f64 v[6:7], v[172:173], s[18:19]
	scratch_load_b64 v[152:153], off, off offset:444 ; 8-byte Folded Reload
	v_fma_f64 v[21:22], v[14:15], v[154:155], -v[25:26]
	v_fma_f64 v[25:26], v[70:71], s[20:21], v[57:58]
	v_fma_f64 v[14:15], v[112:113], s[52:53], v[6:7]
	s_delay_alu instid0(VALU_DEP_1) | instskip(NEXT) | instid1(VALU_DEP_1)
	v_add_f64 v[14:15], v[31:32], v[14:15]
	v_add_f64 v[14:15], v[25:26], v[14:15]
	v_fma_f64 v[25:26], v[114:115], s[18:19], v[59:60]
	s_delay_alu instid0(VALU_DEP_1) | instskip(NEXT) | instid1(VALU_DEP_1)
	v_add_f64 v[25:26], v[29:30], v[25:26]
	v_add_f64 v[25:26], v[27:28], v[25:26]
	v_fma_f64 v[27:28], v[122:123], s[44:45], v[63:64]
	s_delay_alu instid0(VALU_DEP_1) | instskip(SKIP_1) | instid1(VALU_DEP_1)
	v_add_f64 v[14:15], v[27:28], v[14:15]
	v_fma_f64 v[27:28], v[124:125], s[26:27], v[65:66]
	v_add_f64 v[25:26], v[27:28], v[25:26]
	v_fma_f64 v[27:28], v[126:127], s[42:43], v[67:68]
	s_delay_alu instid0(VALU_DEP_1) | instskip(SKIP_1) | instid1(VALU_DEP_1)
	v_add_f64 v[14:15], v[27:28], v[14:15]
	v_fma_f64 v[27:28], v[128:129], s[10:11], v[72:73]
	;; [unrolled: 5-line block ×6, first 2 shown]
	v_add_f64 v[14:15], v[27:28], v[14:15]
	s_delay_alu instid0(VALU_DEP_3) | instskip(NEXT) | instid1(VALU_DEP_2)
	v_mul_f64 v[27:28], v[25:26], v[156:157]
	v_mul_f64 v[150:151], v[14:15], v[156:157]
	s_waitcnt vmcnt(0)
	s_delay_alu instid0(VALU_DEP_2)
	v_fma_f64 v[27:28], v[14:15], v[152:153], v[27:28]
	v_mul_f64 v[14:15], v[172:173], s[28:29]
	v_mul_f64 v[172:173], v[184:185], s[38:39]
	;; [unrolled: 1-line block ×8, first 2 shown]
	scratch_load_b64 v[216:217], off, off offset:388 ; 8-byte Folded Reload
	v_fma_f64 v[25:26], v[25:26], v[152:153], -v[150:151]
	v_mul_f64 v[150:151], v[182:183], s[12:13]
	v_fma_f64 v[152:153], v[112:113], s[56:57], v[14:15]
	v_mul_f64 v[182:183], v[196:197], s[14:15]
	v_mul_f64 v[196:197], v[202:203], s[2:3]
	;; [unrolled: 1-line block ×6, first 2 shown]
	scratch_load_b64 v[218:219], off, off offset:372 ; 8-byte Folded Reload
	v_fma_f64 v[14:15], v[112:113], s[38:39], v[14:15]
	v_fma_f64 v[154:155], v[70:71], s[40:41], v[150:151]
	v_add_f64 v[152:153], v[31:32], v[152:153]
	v_fma_f64 v[156:157], v[118:119], s[12:13], v[182:183]
	v_fma_f64 v[150:151], v[70:71], s[14:15], v[150:151]
	v_add_f64 v[14:15], v[31:32], v[14:15]
	s_delay_alu instid0(VALU_DEP_4) | instskip(SKIP_1) | instid1(VALU_DEP_3)
	v_add_f64 v[152:153], v[154:155], v[152:153]
	v_fma_f64 v[154:155], v[114:115], s[28:29], v[172:173]
	v_add_f64 v[14:15], v[150:151], v[14:15]
	v_fma_f64 v[150:151], v[114:115], s[28:29], -v[172:173]
	s_delay_alu instid0(VALU_DEP_3) | instskip(NEXT) | instid1(VALU_DEP_2)
	v_add_f64 v[154:155], v[29:30], v[154:155]
	v_add_f64 v[150:151], v[29:30], v[150:151]
	s_delay_alu instid0(VALU_DEP_2) | instskip(SKIP_1) | instid1(VALU_DEP_1)
	v_add_f64 v[154:155], v[156:157], v[154:155]
	v_fma_f64 v[156:157], v[122:123], s[52:53], v[184:185]
	v_add_f64 v[152:153], v[156:157], v[152:153]
	v_fma_f64 v[156:157], v[124:125], s[18:19], v[194:195]
	s_delay_alu instid0(VALU_DEP_1) | instskip(SKIP_1) | instid1(VALU_DEP_1)
	v_add_f64 v[154:155], v[156:157], v[154:155]
	v_fma_f64 v[156:157], v[126:127], s[48:49], v[196:197]
	v_add_f64 v[152:153], v[156:157], v[152:153]
	v_fma_f64 v[156:157], v[128:129], s[2:3], v[198:199]
	s_delay_alu instid0(VALU_DEP_1) | instskip(SKIP_1) | instid1(VALU_DEP_1)
	;; [unrolled: 5-line block ×5, first 2 shown]
	v_add_f64 v[154:155], v[156:157], v[154:155]
	v_fma_f64 v[156:157], v[146:147], s[26:27], v[214:215]
	v_add_f64 v[154:155], v[156:157], v[154:155]
	v_fma_f64 v[156:157], v[148:149], s[36:37], v[4:5]
	v_fma_f64 v[4:5], v[148:149], s[44:45], v[4:5]
	s_delay_alu instid0(VALU_DEP_2) | instskip(SKIP_1) | instid1(VALU_DEP_4)
	v_add_f64 v[152:153], v[156:157], v[152:153]
	s_waitcnt vmcnt(1)
	v_mul_f64 v[156:157], v[154:155], v[216:217]
	s_delay_alu instid0(VALU_DEP_2) | instskip(SKIP_1) | instid1(VALU_DEP_2)
	v_mul_f64 v[216:217], v[152:153], v[216:217]
	s_waitcnt vmcnt(0)
	v_fma_f64 v[156:157], v[152:153], v[218:219], v[156:157]
	v_fma_f64 v[152:153], v[118:119], s[12:13], -v[182:183]
	scratch_load_b64 v[182:183], off, off offset:276 ; 8-byte Folded Reload
	v_fma_f64 v[154:155], v[154:155], v[218:219], -v[216:217]
	v_add_f64 v[150:151], v[152:153], v[150:151]
	v_fma_f64 v[152:153], v[122:123], s[30:31], v[184:185]
	s_delay_alu instid0(VALU_DEP_1) | instskip(SKIP_1) | instid1(VALU_DEP_1)
	v_add_f64 v[14:15], v[152:153], v[14:15]
	v_fma_f64 v[152:153], v[124:125], s[18:19], -v[194:195]
	v_add_f64 v[150:151], v[152:153], v[150:151]
	v_fma_f64 v[152:153], v[126:127], s[6:7], v[196:197]
	s_delay_alu instid0(VALU_DEP_1) | instskip(SKIP_1) | instid1(VALU_DEP_1)
	v_add_f64 v[14:15], v[152:153], v[14:15]
	v_fma_f64 v[152:153], v[128:129], s[2:3], -v[198:199]
	v_add_f64 v[150:151], v[152:153], v[150:151]
	v_fma_f64 v[152:153], v[130:131], s[42:43], v[202:203]
	s_delay_alu instid0(VALU_DEP_1) | instskip(SKIP_1) | instid1(VALU_DEP_1)
	v_add_f64 v[14:15], v[152:153], v[14:15]
	v_fma_f64 v[152:153], v[132:133], s[10:11], -v[204:205]
	v_add_f64 v[150:151], v[152:153], v[150:151]
	v_fma_f64 v[152:153], v[134:135], s[46:47], v[206:207]
	s_delay_alu instid0(VALU_DEP_1) | instskip(SKIP_1) | instid1(VALU_DEP_1)
	v_add_f64 v[14:15], v[152:153], v[14:15]
	v_fma_f64 v[152:153], v[138:139], s[16:17], -v[208:209]
	v_add_f64 v[150:151], v[152:153], v[150:151]
	v_fma_f64 v[152:153], v[142:143], s[50:51], v[210:211]
	s_delay_alu instid0(VALU_DEP_1) | instskip(SKIP_1) | instid1(VALU_DEP_2)
	v_add_f64 v[14:15], v[152:153], v[14:15]
	v_fma_f64 v[152:153], v[144:145], s[22:23], -v[212:213]
	v_add_f64 v[4:5], v[4:5], v[14:15]
	s_delay_alu instid0(VALU_DEP_2) | instskip(SKIP_1) | instid1(VALU_DEP_1)
	v_add_f64 v[150:151], v[152:153], v[150:151]
	v_fma_f64 v[152:153], v[146:147], s[26:27], -v[214:215]
	v_add_f64 v[150:151], v[152:153], v[150:151]
	scratch_load_b64 v[152:153], off, off offset:292 ; 8-byte Folded Reload
	s_waitcnt vmcnt(0)
	v_mul_f64 v[14:15], v[150:151], v[152:153]
	v_mul_f64 v[172:173], v[4:5], v[152:153]
	s_delay_alu instid0(VALU_DEP_2)
	v_fma_f64 v[152:153], v[4:5], v[182:183], v[14:15]
	v_fma_f64 v[4:5], v[112:113], s[30:31], v[6:7]
	;; [unrolled: 1-line block ×3, first 2 shown]
	v_fma_f64 v[14:15], v[118:119], s[16:17], -v[61:62]
	scratch_load_b64 v[57:58], off, off offset:192 ; 8-byte Folded Reload
	v_fma_f64 v[150:151], v[150:151], v[182:183], -v[172:173]
	v_add_f64 v[4:5], v[31:32], v[4:5]
	s_delay_alu instid0(VALU_DEP_1) | instskip(SKIP_3) | instid1(VALU_DEP_1)
	v_add_f64 v[4:5], v[6:7], v[4:5]
	v_fma_f64 v[6:7], v[114:115], s[18:19], -v[59:60]
	scratch_load_b64 v[59:60], off, off offset:176 ; 8-byte Folded Reload
	v_add_f64 v[6:7], v[29:30], v[6:7]
	v_add_f64 v[6:7], v[14:15], v[6:7]
	v_fma_f64 v[14:15], v[122:123], s[36:37], v[63:64]
	s_delay_alu instid0(VALU_DEP_1) | instskip(SKIP_1) | instid1(VALU_DEP_1)
	v_add_f64 v[4:5], v[14:15], v[4:5]
	v_fma_f64 v[14:15], v[124:125], s[26:27], -v[65:66]
	v_add_f64 v[6:7], v[14:15], v[6:7]
	v_fma_f64 v[14:15], v[126:127], s[24:25], v[67:68]
	s_delay_alu instid0(VALU_DEP_1) | instskip(SKIP_1) | instid1(VALU_DEP_1)
	v_add_f64 v[4:5], v[14:15], v[4:5]
	v_fma_f64 v[14:15], v[128:129], s[10:11], -v[72:73]
	;; [unrolled: 5-line block ×5, first 2 shown]
	v_add_f64 v[6:7], v[14:15], v[6:7]
	v_fma_f64 v[14:15], v[146:147], s[22:23], -v[164:165]
	s_delay_alu instid0(VALU_DEP_1) | instskip(SKIP_1) | instid1(VALU_DEP_1)
	v_add_f64 v[6:7], v[14:15], v[6:7]
	v_fma_f64 v[14:15], v[148:149], s[50:51], v[166:167]
	v_add_f64 v[4:5], v[14:15], v[4:5]
	s_waitcnt vmcnt(1)
	s_delay_alu instid0(VALU_DEP_3) | instskip(NEXT) | instid1(VALU_DEP_2)
	v_mul_f64 v[14:15], v[6:7], v[57:58]
	v_mul_f64 v[57:58], v[4:5], v[57:58]
	s_waitcnt vmcnt(0)
	s_delay_alu instid0(VALU_DEP_2)
	v_fma_f64 v[184:185], v[4:5], v[59:60], v[14:15]
	v_fma_f64 v[4:5], v[70:71], s[34:35], v[8:9]
	scratch_load_b64 v[8:9], off, off offset:136 ; 8-byte Folded Reload
	v_fma_f64 v[182:183], v[6:7], v[59:60], -v[57:58]
	v_fma_f64 v[6:7], v[118:119], s[22:23], -v[16:17]
	v_add_f64 v[0:1], v[4:5], v[0:1]
	v_fma_f64 v[4:5], v[114:115], s[10:11], -v[12:13]
	scratch_load_b64 v[12:13], off, off offset:120 ; 8-byte Folded Reload
	v_add_f64 v[4:5], v[29:30], v[4:5]
	s_delay_alu instid0(VALU_DEP_1) | instskip(SKIP_1) | instid1(VALU_DEP_1)
	v_add_f64 v[4:5], v[6:7], v[4:5]
	v_fma_f64 v[6:7], v[122:123], s[40:41], v[18:19]
	v_add_f64 v[0:1], v[6:7], v[0:1]
	v_fma_f64 v[6:7], v[124:125], s[12:13], -v[33:34]
	s_delay_alu instid0(VALU_DEP_1) | instskip(SKIP_1) | instid1(VALU_DEP_1)
	v_add_f64 v[4:5], v[6:7], v[4:5]
	v_fma_f64 v[6:7], v[126:127], s[30:31], v[35:36]
	v_add_f64 v[0:1], v[6:7], v[0:1]
	v_fma_f64 v[6:7], v[128:129], s[18:19], -v[37:38]
	;; [unrolled: 5-line block ×5, first 2 shown]
	s_delay_alu instid0(VALU_DEP_1) | instskip(SKIP_1) | instid1(VALU_DEP_1)
	v_add_f64 v[4:5], v[6:7], v[4:5]
	v_fma_f64 v[6:7], v[146:147], s[16:17], -v[51:52]
	v_add_f64 v[4:5], v[6:7], v[4:5]
	v_fma_f64 v[6:7], v[148:149], s[46:47], v[55:56]
	s_delay_alu instid0(VALU_DEP_1) | instskip(SKIP_1) | instid1(VALU_DEP_3)
	v_add_f64 v[0:1], v[6:7], v[0:1]
	s_waitcnt vmcnt(1)
	v_mul_f64 v[6:7], v[4:5], v[8:9]
	s_delay_alu instid0(VALU_DEP_2) | instskip(SKIP_1) | instid1(VALU_DEP_2)
	v_mul_f64 v[8:9], v[0:1], v[8:9]
	s_waitcnt vmcnt(0)
	v_fma_f64 v[196:197], v[0:1], v[12:13], v[6:7]
	v_fma_f64 v[0:1], v[112:113], s[50:51], v[116:117]
	v_fma_f64 v[6:7], v[118:119], s[18:19], -v[102:103]
	s_delay_alu instid0(VALU_DEP_4) | instskip(SKIP_1) | instid1(VALU_DEP_4)
	v_fma_f64 v[194:195], v[4:5], v[12:13], -v[8:9]
	v_fma_f64 v[4:5], v[70:71], s[52:53], v[110:111]
	v_add_f64 v[0:1], v[31:32], v[0:1]
	scratch_load_b64 v[8:9], off, off offset:104 ; 8-byte Folded Reload
	v_add_f64 v[0:1], v[4:5], v[0:1]
	v_fma_f64 v[4:5], v[114:115], s[22:23], -v[108:109]
	s_delay_alu instid0(VALU_DEP_1) | instskip(NEXT) | instid1(VALU_DEP_1)
	v_add_f64 v[4:5], v[29:30], v[4:5]
	v_add_f64 v[4:5], v[6:7], v[4:5]
	v_fma_f64 v[6:7], v[122:123], s[6:7], v[140:141]
	s_delay_alu instid0(VALU_DEP_1) | instskip(SKIP_1) | instid1(VALU_DEP_1)
	v_add_f64 v[0:1], v[6:7], v[0:1]
	v_fma_f64 v[6:7], v[124:125], s[2:3], -v[100:101]
	v_add_f64 v[4:5], v[6:7], v[4:5]
	v_fma_f64 v[6:7], v[126:127], s[20:21], v[98:99]
	s_delay_alu instid0(VALU_DEP_1) | instskip(SKIP_1) | instid1(VALU_DEP_1)
	v_add_f64 v[0:1], v[6:7], v[0:1]
	v_fma_f64 v[6:7], v[128:129], s[16:17], -v[94:95]
	;; [unrolled: 5-line block ×4, first 2 shown]
	v_add_f64 v[4:5], v[6:7], v[4:5]
	v_fma_f64 v[6:7], v[142:143], s[40:41], v[104:105]
	s_delay_alu instid0(VALU_DEP_1) | instskip(SKIP_1) | instid1(VALU_DEP_2)
	v_add_f64 v[0:1], v[6:7], v[0:1]
	v_fma_f64 v[6:7], v[144:145], s[12:13], -v[53:54]
	v_add_f64 v[0:1], v[2:3], v[0:1]
	s_delay_alu instid0(VALU_DEP_2) | instskip(SKIP_2) | instid1(VALU_DEP_2)
	v_add_f64 v[4:5], v[6:7], v[4:5]
	v_fma_f64 v[6:7], v[146:147], s[10:11], -v[10:11]
	v_fma_f64 v[10:11], v[124:125], s[22:23], -v[170:171]
	v_add_f64 v[4:5], v[6:7], v[4:5]
	scratch_load_b64 v[6:7], off, off offset:112 ; 8-byte Folded Reload
	s_waitcnt vmcnt(0)
	v_mul_f64 v[2:3], v[4:5], v[6:7]
	v_mul_f64 v[6:7], v[0:1], v[6:7]
	s_delay_alu instid0(VALU_DEP_2)
	v_fma_f64 v[110:111], v[0:1], v[8:9], v[2:3]
	s_clause 0x1
	scratch_load_b64 v[0:1], off, off offset:220
	scratch_load_b64 v[2:3], off, off offset:244
	v_fma_f64 v[108:109], v[4:5], v[8:9], -v[6:7]
	s_clause 0x2
	scratch_load_b64 v[4:5], off, off offset:228
	scratch_load_b64 v[6:7], off, off offset:48
	;; [unrolled: 1-line block ×3, first 2 shown]
	s_waitcnt vmcnt(4)
	v_add_f64 v[0:1], v[29:30], v[0:1]
	s_waitcnt vmcnt(3)
	s_delay_alu instid0(VALU_DEP_1) | instskip(SKIP_3) | instid1(VALU_DEP_1)
	v_add_f64 v[0:1], v[0:1], v[2:3]
	scratch_load_b64 v[2:3], off, off offset:200 ; 8-byte Folded Reload
	s_waitcnt vmcnt(0)
	v_add_f64 v[2:3], v[31:32], v[2:3]
	v_add_f64 v[2:3], v[2:3], v[4:5]
	scratch_load_b64 v[4:5], off, off offset:268 ; 8-byte Folded Reload
	s_waitcnt vmcnt(0)
	v_add_f64 v[0:1], v[0:1], v[4:5]
	scratch_load_b64 v[4:5], off, off offset:252 ; 8-byte Folded Reload
	s_waitcnt vmcnt(0)
	;; [unrolled: 3-line block ×28, first 2 shown]
	v_add_f64 v[2:3], v[2:3], v[4:5]
	v_mul_f64 v[4:5], v[0:1], v[6:7]
	s_delay_alu instid0(VALU_DEP_2) | instskip(NEXT) | instid1(VALU_DEP_2)
	v_mul_f64 v[6:7], v[2:3], v[6:7]
	v_fma_f64 v[35:36], v[2:3], v[8:9], v[4:5]
	v_fma_f64 v[2:3], v[114:115], s[26:27], -v[136:137]
	v_fma_f64 v[4:5], v[118:119], s[28:29], -v[158:159]
	s_delay_alu instid0(VALU_DEP_4)
	v_fma_f64 v[33:34], v[0:1], v[8:9], -v[6:7]
	s_clause 0x1
	scratch_load_b64 v[0:1], off, off offset:460
	scratch_load_b64 v[6:7], off, off offset:452
	v_add_f64 v[2:3], v[29:30], v[2:3]
	v_fma_f64 v[8:9], v[122:123], s[34:35], v[120:121]
	s_delay_alu instid0(VALU_DEP_2) | instskip(SKIP_1) | instid1(VALU_DEP_2)
	v_add_f64 v[2:3], v[4:5], v[2:3]
	v_fma_f64 v[4:5], v[126:127], s[14:15], v[168:169]
	v_add_f64 v[2:3], v[10:11], v[2:3]
	v_fma_f64 v[10:11], v[132:133], s[16:17], -v[180:181]
	s_waitcnt vmcnt(1)
	v_fma_f64 v[0:1], v[112:113], s[36:37], v[0:1]
	s_waitcnt vmcnt(0)
	v_fma_f64 v[6:7], v[70:71], s[38:39], v[6:7]
	s_delay_alu instid0(VALU_DEP_2) | instskip(NEXT) | instid1(VALU_DEP_1)
	v_add_f64 v[0:1], v[31:32], v[0:1]
	v_add_f64 v[0:1], v[6:7], v[0:1]
	v_fma_f64 v[6:7], v[128:129], s[12:13], -v[176:177]
	s_delay_alu instid0(VALU_DEP_2) | instskip(NEXT) | instid1(VALU_DEP_2)
	v_add_f64 v[0:1], v[8:9], v[0:1]
	v_add_f64 v[2:3], v[6:7], v[2:3]
	v_fma_f64 v[6:7], v[138:139], s[18:19], -v[188:189]
	v_fma_f64 v[8:9], v[130:131], s[20:21], v[174:175]
	s_delay_alu instid0(VALU_DEP_4) | instskip(NEXT) | instid1(VALU_DEP_4)
	v_add_f64 v[0:1], v[4:5], v[0:1]
	v_add_f64 v[2:3], v[10:11], v[2:3]
	v_fma_f64 v[10:11], v[144:145], s[10:11], -v[192:193]
	v_fma_f64 v[4:5], v[134:135], s[30:31], v[178:179]
	s_delay_alu instid0(VALU_DEP_4) | instskip(NEXT) | instid1(VALU_DEP_4)
	;; [unrolled: 5-line block ×3, first 2 shown]
	v_add_f64 v[0:1], v[4:5], v[0:1]
	v_add_f64 v[2:3], v[10:11], v[2:3]
	v_fma_f64 v[4:5], v[148:149], s[6:7], v[200:201]
	s_delay_alu instid0(VALU_DEP_3) | instskip(NEXT) | instid1(VALU_DEP_3)
	v_add_f64 v[0:1], v[8:9], v[0:1]
	v_add_f64 v[2:3], v[6:7], v[2:3]
	s_clause 0x1
	scratch_load_b64 v[6:7], off, off offset:96
	scratch_load_b64 v[8:9], off, off offset:88
	v_add_f64 v[0:1], v[4:5], v[0:1]
	s_waitcnt vmcnt(1)
	v_mul_f64 v[4:5], v[2:3], v[6:7]
	s_delay_alu instid0(VALU_DEP_2) | instskip(SKIP_1) | instid1(VALU_DEP_2)
	v_mul_f64 v[6:7], v[0:1], v[6:7]
	s_waitcnt vmcnt(0)
	v_fma_f64 v[31:32], v[0:1], v[8:9], v[4:5]
	scratch_load_b32 v0, off, off offset:216 ; 4-byte Folded Reload
	v_fma_f64 v[29:30], v[2:3], v[8:9], -v[6:7]
	s_waitcnt vmcnt(0)
	v_and_b32_e32 v0, 0xffff, v0
	s_delay_alu instid0(VALU_DEP_1) | instskip(NEXT) | instid1(VALU_DEP_1)
	v_mul_u32_u24_e32 v0, 0x227, v0
	v_lshrrev_b32_e32 v0, 16, v0
	s_delay_alu instid0(VALU_DEP_1) | instskip(NEXT) | instid1(VALU_DEP_1)
	v_mul_lo_u16 v0, 0x121, v0
	v_and_b32_e32 v0, 0xffff, v0
	s_delay_alu instid0(VALU_DEP_1)
	v_add_nc_u32_e32 v9, v222, v0
	scratch_load_b64 v[0:1], off, off       ; 8-byte Folded Reload
	v_add_nc_u32_e32 v10, 0xee, v9
	v_add_nc_u32_e32 v13, 0x110, v9
	s_waitcnt vmcnt(0)
	v_add_nc_u32_e32 v0, s5, v0
	s_delay_alu instid0(VALU_DEP_1) | instskip(SKIP_1) | instid1(VALU_DEP_1)
	v_mad_u64_u32 v[1:2], null, s4, v9, v[0:1]
	v_mov_b32_e32 v2, 0
	v_lshlrev_b64 v[3:4], 4, v[1:2]
	v_add_nc_u32_e32 v1, 17, v9
	s_delay_alu instid0(VALU_DEP_2) | instskip(NEXT) | instid1(VALU_DEP_3)
	v_add_co_u32 v3, vcc_lo, s0, v3
	v_add_co_ci_u32_e32 v4, vcc_lo, s1, v4, vcc_lo
	global_store_b128 v[3:4], v[33:36], off
	v_mad_u64_u32 v[3:4], null, s4, v1, v[0:1]
	v_dual_mov_b32 v4, v2 :: v_dual_add_nc_u32 v1, 34, v9
	s_delay_alu instid0(VALU_DEP_1) | instskip(NEXT) | instid1(VALU_DEP_1)
	v_lshlrev_b64 v[3:4], 4, v[3:4]
	v_add_co_u32 v3, vcc_lo, s0, v3
	s_delay_alu instid0(VALU_DEP_2) | instskip(SKIP_3) | instid1(VALU_DEP_1)
	v_add_co_ci_u32_e32 v4, vcc_lo, s1, v4, vcc_lo
	global_store_b128 v[3:4], v[160:163], off
	v_mad_u64_u32 v[3:4], null, s4, v1, v[0:1]
	v_dual_mov_b32 v4, v2 :: v_dual_add_nc_u32 v1, 51, v9
	v_lshlrev_b64 v[3:4], 4, v[3:4]
	s_delay_alu instid0(VALU_DEP_1) | instskip(NEXT) | instid1(VALU_DEP_2)
	v_add_co_u32 v3, vcc_lo, s0, v3
	v_add_co_ci_u32_e32 v4, vcc_lo, s1, v4, vcc_lo
	global_store_b128 v[3:4], v[225:228], off
	v_mad_u64_u32 v[3:4], null, s4, v1, v[0:1]
	v_dual_mov_b32 v4, v2 :: v_dual_add_nc_u32 v1, 0x44, v9
	s_delay_alu instid0(VALU_DEP_1) | instskip(NEXT) | instid1(VALU_DEP_1)
	v_lshlrev_b64 v[3:4], 4, v[3:4]
	v_add_co_u32 v3, vcc_lo, s0, v3
	s_delay_alu instid0(VALU_DEP_2) | instskip(SKIP_3) | instid1(VALU_DEP_1)
	v_add_co_ci_u32_e32 v4, vcc_lo, s1, v4, vcc_lo
	global_store_b128 v[3:4], v[229:232], off
	v_mad_u64_u32 v[3:4], null, s4, v1, v[0:1]
	v_dual_mov_b32 v4, v2 :: v_dual_add_nc_u32 v1, 0x55, v9
	v_lshlrev_b64 v[3:4], 4, v[3:4]
	s_delay_alu instid0(VALU_DEP_1) | instskip(NEXT) | instid1(VALU_DEP_2)
	;; [unrolled: 15-line block ×4, first 2 shown]
	v_add_co_u32 v3, vcc_lo, s0, v3
	v_add_co_ci_u32_e32 v4, vcc_lo, s1, v4, vcc_lo
	global_store_b128 v[3:4], v[150:153], off
	v_mad_u64_u32 v[3:4], null, s4, v1, v[0:1]
	v_dual_mov_b32 v4, v2 :: v_dual_add_nc_u32 v1, 0xaa, v9
	s_delay_alu instid0(VALU_DEP_1) | instskip(NEXT) | instid1(VALU_DEP_2)
	v_lshlrev_b64 v[3:4], 4, v[3:4]
	v_mad_u64_u32 v[5:6], null, s4, v1, v[0:1]
	v_dual_mov_b32 v6, v2 :: v_dual_add_nc_u32 v1, 0xbb, v9
	s_delay_alu instid0(VALU_DEP_3) | instskip(NEXT) | instid1(VALU_DEP_2)
	v_add_co_u32 v3, vcc_lo, s0, v3
	v_mad_u64_u32 v[7:8], null, s4, v1, v[0:1]
	v_add_co_ci_u32_e32 v4, vcc_lo, s1, v4, vcc_lo
	v_mov_b32_e32 v8, v2
	v_lshlrev_b64 v[5:6], 4, v[5:6]
	v_add_nc_u32_e32 v1, 0xcc, v9
	global_store_b128 v[3:4], v[154:157], off
	v_lshlrev_b64 v[3:4], 4, v[7:8]
	v_add_co_u32 v5, vcc_lo, s0, v5
	v_add_co_ci_u32_e32 v6, vcc_lo, s1, v6, vcc_lo
	v_mad_u64_u32 v[7:8], null, s4, v1, v[0:1]
	v_add_nc_u32_e32 v1, 0xdd, v9
	v_add_co_u32 v3, vcc_lo, s0, v3
	v_add_co_ci_u32_e32 v4, vcc_lo, s1, v4, vcc_lo
	v_mov_b32_e32 v8, v2
	global_store_b128 v[5:6], v[25:28], off
	v_mad_u64_u32 v[5:6], null, s4, v1, v[0:1]
	global_store_b128 v[3:4], v[21:24], off
	v_lshlrev_b64 v[3:4], 4, v[7:8]
	v_mov_b32_e32 v6, v2
	v_mad_u64_u32 v[7:8], null, s4, v10, v[0:1]
	v_dual_mov_b32 v8, v2 :: v_dual_add_nc_u32 v1, 0xff, v9
	s_delay_alu instid0(VALU_DEP_3) | instskip(SKIP_1) | instid1(VALU_DEP_3)
	v_lshlrev_b64 v[5:6], 4, v[5:6]
	v_add_co_u32 v3, vcc_lo, s0, v3
	v_mad_u64_u32 v[9:10], null, s4, v1, v[0:1]
	v_mad_u64_u32 v[11:12], null, s4, v13, v[0:1]
	v_mov_b32_e32 v10, v2
	v_mov_b32_e32 v12, v2
	v_add_co_ci_u32_e32 v4, vcc_lo, s1, v4, vcc_lo
	v_add_co_u32 v0, vcc_lo, s0, v5
	v_add_co_ci_u32_e32 v1, vcc_lo, s1, v6, vcc_lo
	v_lshlrev_b64 v[5:6], 4, v[9:10]
	v_lshlrev_b64 v[9:10], 4, v[11:12]
	scratch_load_b128 v[11:14], off, off offset:72 ; 16-byte Folded Reload
	global_store_b128 v[3:4], v[86:89], off
	v_lshlrev_b64 v[7:8], 4, v[7:8]
	s_delay_alu instid0(VALU_DEP_1) | instskip(NEXT) | instid1(VALU_DEP_2)
	v_add_co_u32 v7, vcc_lo, s0, v7
	v_add_co_ci_u32_e32 v8, vcc_lo, s1, v8, vcc_lo
	v_add_co_u32 v5, vcc_lo, s0, v5
	v_add_co_ci_u32_e32 v6, vcc_lo, s1, v6, vcc_lo
	;; [unrolled: 2-line block ×3, first 2 shown]
	s_waitcnt vmcnt(0)
	global_store_b128 v[0:1], v[11:14], off
	scratch_load_b128 v[0:3], off, off offset:56 ; 16-byte Folded Reload
	s_waitcnt vmcnt(0)
	global_store_b128 v[7:8], v[0:3], off
	scratch_load_b128 v[0:3], off, off offset:24 ; 16-byte Folded Reload
	;; [unrolled: 3-line block ×3, first 2 shown]
	s_waitcnt vmcnt(0)
	global_store_b128 v[9:10], v[0:3], off
.LBB0_48:
	s_endpgm
	.section	.rodata,"a",@progbits
	.p2align	6, 0x0
	.amdhsa_kernel fft_rtc_fwd_len289_factors_17_17_wgs_119_tpt_17_dp_ip_CI_sbcc_twdbase8_2step_dirReg_intrinsicReadWrite
		.amdhsa_group_segment_fixed_size 0
		.amdhsa_private_segment_fixed_size 472
		.amdhsa_kernarg_size 96
		.amdhsa_user_sgpr_count 15
		.amdhsa_user_sgpr_dispatch_ptr 0
		.amdhsa_user_sgpr_queue_ptr 0
		.amdhsa_user_sgpr_kernarg_segment_ptr 1
		.amdhsa_user_sgpr_dispatch_id 0
		.amdhsa_user_sgpr_private_segment_size 0
		.amdhsa_wavefront_size32 1
		.amdhsa_uses_dynamic_stack 0
		.amdhsa_enable_private_segment 1
		.amdhsa_system_sgpr_workgroup_id_x 1
		.amdhsa_system_sgpr_workgroup_id_y 0
		.amdhsa_system_sgpr_workgroup_id_z 0
		.amdhsa_system_sgpr_workgroup_info 0
		.amdhsa_system_vgpr_workitem_id 0
		.amdhsa_next_free_vgpr 256
		.amdhsa_next_free_sgpr 59
		.amdhsa_reserve_vcc 1
		.amdhsa_float_round_mode_32 0
		.amdhsa_float_round_mode_16_64 0
		.amdhsa_float_denorm_mode_32 3
		.amdhsa_float_denorm_mode_16_64 3
		.amdhsa_dx10_clamp 1
		.amdhsa_ieee_mode 1
		.amdhsa_fp16_overflow 0
		.amdhsa_workgroup_processor_mode 1
		.amdhsa_memory_ordered 1
		.amdhsa_forward_progress 0
		.amdhsa_shared_vgpr_count 0
		.amdhsa_exception_fp_ieee_invalid_op 0
		.amdhsa_exception_fp_denorm_src 0
		.amdhsa_exception_fp_ieee_div_zero 0
		.amdhsa_exception_fp_ieee_overflow 0
		.amdhsa_exception_fp_ieee_underflow 0
		.amdhsa_exception_fp_ieee_inexact 0
		.amdhsa_exception_int_div_zero 0
	.end_amdhsa_kernel
	.text
.Lfunc_end0:
	.size	fft_rtc_fwd_len289_factors_17_17_wgs_119_tpt_17_dp_ip_CI_sbcc_twdbase8_2step_dirReg_intrinsicReadWrite, .Lfunc_end0-fft_rtc_fwd_len289_factors_17_17_wgs_119_tpt_17_dp_ip_CI_sbcc_twdbase8_2step_dirReg_intrinsicReadWrite
                                        ; -- End function
	.section	.AMDGPU.csdata,"",@progbits
; Kernel info:
; codeLenInByte = 22420
; NumSgprs: 61
; NumVgprs: 256
; ScratchSize: 472
; MemoryBound: 0
; FloatMode: 240
; IeeeMode: 1
; LDSByteSize: 0 bytes/workgroup (compile time only)
; SGPRBlocks: 7
; VGPRBlocks: 31
; NumSGPRsForWavesPerEU: 61
; NumVGPRsForWavesPerEU: 256
; Occupancy: 5
; WaveLimiterHint : 1
; COMPUTE_PGM_RSRC2:SCRATCH_EN: 1
; COMPUTE_PGM_RSRC2:USER_SGPR: 15
; COMPUTE_PGM_RSRC2:TRAP_HANDLER: 0
; COMPUTE_PGM_RSRC2:TGID_X_EN: 1
; COMPUTE_PGM_RSRC2:TGID_Y_EN: 0
; COMPUTE_PGM_RSRC2:TGID_Z_EN: 0
; COMPUTE_PGM_RSRC2:TIDIG_COMP_CNT: 0
	.text
	.p2alignl 7, 3214868480
	.fill 96, 4, 3214868480
	.type	__hip_cuid_9f956d148c6bca62,@object ; @__hip_cuid_9f956d148c6bca62
	.section	.bss,"aw",@nobits
	.globl	__hip_cuid_9f956d148c6bca62
__hip_cuid_9f956d148c6bca62:
	.byte	0                               ; 0x0
	.size	__hip_cuid_9f956d148c6bca62, 1

	.ident	"AMD clang version 19.0.0git (https://github.com/RadeonOpenCompute/llvm-project roc-6.4.0 25133 c7fe45cf4b819c5991fe208aaa96edf142730f1d)"
	.section	".note.GNU-stack","",@progbits
	.addrsig
	.addrsig_sym __hip_cuid_9f956d148c6bca62
	.amdgpu_metadata
---
amdhsa.kernels:
  - .args:
      - .actual_access:  read_only
        .address_space:  global
        .offset:         0
        .size:           8
        .value_kind:     global_buffer
      - .address_space:  global
        .offset:         8
        .size:           8
        .value_kind:     global_buffer
      - .offset:         16
        .size:           8
        .value_kind:     by_value
      - .actual_access:  read_only
        .address_space:  global
        .offset:         24
        .size:           8
        .value_kind:     global_buffer
      - .actual_access:  read_only
        .address_space:  global
        .offset:         32
        .size:           8
        .value_kind:     global_buffer
      - .offset:         40
        .size:           8
        .value_kind:     by_value
      - .actual_access:  read_only
        .address_space:  global
        .offset:         48
        .size:           8
        .value_kind:     global_buffer
      - .actual_access:  read_only
        .address_space:  global
        .offset:         56
        .size:           8
        .value_kind:     global_buffer
      - .offset:         64
        .size:           4
        .value_kind:     by_value
      - .actual_access:  read_only
        .address_space:  global
        .offset:         72
        .size:           8
        .value_kind:     global_buffer
      - .actual_access:  read_only
        .address_space:  global
        .offset:         80
        .size:           8
        .value_kind:     global_buffer
      - .address_space:  global
        .offset:         88
        .size:           8
        .value_kind:     global_buffer
    .group_segment_fixed_size: 0
    .kernarg_segment_align: 8
    .kernarg_segment_size: 96
    .language:       OpenCL C
    .language_version:
      - 2
      - 0
    .max_flat_workgroup_size: 119
    .name:           fft_rtc_fwd_len289_factors_17_17_wgs_119_tpt_17_dp_ip_CI_sbcc_twdbase8_2step_dirReg_intrinsicReadWrite
    .private_segment_fixed_size: 472
    .sgpr_count:     61
    .sgpr_spill_count: 0
    .symbol:         fft_rtc_fwd_len289_factors_17_17_wgs_119_tpt_17_dp_ip_CI_sbcc_twdbase8_2step_dirReg_intrinsicReadWrite.kd
    .uniform_work_group_size: 1
    .uses_dynamic_stack: false
    .vgpr_count:     256
    .vgpr_spill_count: 160
    .wavefront_size: 32
    .workgroup_processor_mode: 1
amdhsa.target:   amdgcn-amd-amdhsa--gfx1100
amdhsa.version:
  - 1
  - 2
...

	.end_amdgpu_metadata
